;; amdgpu-corpus repo=ROCm/rocFFT kind=compiled arch=gfx1201 opt=O3
	.text
	.amdgcn_target "amdgcn-amd-amdhsa--gfx1201"
	.amdhsa_code_object_version 6
	.protected	bluestein_single_fwd_len78_dim1_dp_op_CI_CI ; -- Begin function bluestein_single_fwd_len78_dim1_dp_op_CI_CI
	.globl	bluestein_single_fwd_len78_dim1_dp_op_CI_CI
	.p2align	8
	.type	bluestein_single_fwd_len78_dim1_dp_op_CI_CI,@function
bluestein_single_fwd_len78_dim1_dp_op_CI_CI: ; @bluestein_single_fwd_len78_dim1_dp_op_CI_CI
; %bb.0:
	s_load_b128 s[16:19], s[0:1], 0x28
	v_mul_u32_u24_e32 v1, 0x13b2, v0
	s_mov_b32 s2, exec_lo
	s_delay_alu instid0(VALU_DEP_1) | instskip(NEXT) | instid1(VALU_DEP_1)
	v_lshrrev_b32_e32 v1, 16, v1
	v_mad_co_u64_u32 v[124:125], null, ttmp9, 19, v[1:2]
	v_mov_b32_e32 v125, 0
	s_wait_kmcnt 0x0
	s_delay_alu instid0(VALU_DEP_1)
	v_cmpx_gt_u64_e64 s[16:17], v[124:125]
	s_cbranch_execz .LBB0_10
; %bb.1:
	s_clause 0x1
	s_load_b128 s[4:7], s[0:1], 0x18
	s_load_b128 s[8:11], s[0:1], 0x0
	v_mul_lo_u16 v1, v1, 13
	v_mul_hi_u32 v73, 0xaf286bcb, v124
	s_load_b64 s[0:1], s[0:1], 0x38
                                        ; implicit-def: $vgpr76_vgpr77
                                        ; implicit-def: $vgpr80_vgpr81
	s_delay_alu instid0(VALU_DEP_2) | instskip(NEXT) | instid1(VALU_DEP_2)
	v_sub_nc_u16 v72, v0, v1
	v_sub_nc_u32_e32 v74, v124, v73
	s_delay_alu instid0(VALU_DEP_2) | instskip(NEXT) | instid1(VALU_DEP_2)
	v_and_b32_e32 v195, 0xffff, v72
	v_lshrrev_b32_e32 v74, 1, v74
	s_delay_alu instid0(VALU_DEP_2) | instskip(SKIP_2) | instid1(VALU_DEP_2)
	v_lshlrev_b32_e32 v131, 4, v195
	s_wait_kmcnt 0x0
	s_load_b128 s[12:15], s[4:5], 0x0
	v_add_nc_u32_e32 v73, v74, v73
	s_delay_alu instid0(VALU_DEP_1) | instskip(SKIP_4) | instid1(VALU_DEP_1)
	v_lshrrev_b32_e32 v73, 4, v73
	s_wait_kmcnt 0x0
	v_mad_co_u64_u32 v[0:1], null, s14, v124, 0
	v_mad_co_u64_u32 v[2:3], null, s12, v195, 0
	s_mul_u64 s[2:3], s[12:13], 0xd0
	v_mad_co_u64_u32 v[4:5], null, s15, v124, v[1:2]
	s_delay_alu instid0(VALU_DEP_1) | instskip(SKIP_2) | instid1(VALU_DEP_1)
	v_mad_co_u64_u32 v[5:6], null, s13, v195, v[3:4]
	v_mov_b32_e32 v1, v4
	s_mov_b32 s13, 0xbfebb67a
	v_lshlrev_b64_e32 v[0:1], 4, v[0:1]
	s_delay_alu instid0(VALU_DEP_3) | instskip(NEXT) | instid1(VALU_DEP_2)
	v_mov_b32_e32 v3, v5
	v_add_co_u32 v0, vcc_lo, s18, v0
	s_delay_alu instid0(VALU_DEP_2) | instskip(NEXT) | instid1(VALU_DEP_4)
	v_lshlrev_b64_e32 v[2:3], 4, v[2:3]
	v_add_co_ci_u32_e32 v1, vcc_lo, s19, v1, vcc_lo
	s_delay_alu instid0(VALU_DEP_2) | instskip(SKIP_1) | instid1(VALU_DEP_2)
	v_add_co_u32 v16, vcc_lo, v0, v2
	s_wait_alu 0xfffd
	v_add_co_ci_u32_e32 v17, vcc_lo, v1, v3, vcc_lo
	s_clause 0x1
	global_load_b128 v[0:3], v131, s[8:9]
	global_load_b128 v[4:7], v131, s[8:9] offset:208
	v_add_co_u32 v18, vcc_lo, v16, s2
	s_wait_alu 0xfffd
	v_add_co_ci_u32_e32 v19, vcc_lo, s3, v17, vcc_lo
	s_clause 0x1
	global_load_b128 v[8:11], v131, s[8:9] offset:416
	global_load_b128 v[12:15], v131, s[8:9] offset:624
	v_add_co_u32 v20, vcc_lo, v18, s2
	s_wait_alu 0xfffd
	v_add_co_ci_u32_e32 v21, vcc_lo, s3, v19, vcc_lo
	global_load_b128 v[24:27], v[16:17], off
	v_add_co_u32 v22, vcc_lo, v20, s2
	s_wait_alu 0xfffd
	v_add_co_ci_u32_e32 v23, vcc_lo, s3, v21, vcc_lo
	s_clause 0x1
	global_load_b128 v[28:31], v[18:19], off
	global_load_b128 v[32:35], v[20:21], off
	v_add_co_u32 v16, vcc_lo, v22, s2
	s_wait_alu 0xfffd
	v_add_co_ci_u32_e32 v17, vcc_lo, s3, v23, vcc_lo
	s_delay_alu instid0(VALU_DEP_2) | instskip(SKIP_1) | instid1(VALU_DEP_2)
	v_add_co_u32 v44, vcc_lo, v16, s2
	s_wait_alu 0xfffd
	v_add_co_ci_u32_e32 v45, vcc_lo, s3, v17, vcc_lo
	s_clause 0x1
	global_load_b128 v[36:39], v[22:23], off
	global_load_b128 v[40:43], v[16:17], off
	s_clause 0x1
	global_load_b128 v[16:19], v131, s[8:9] offset:832
	global_load_b128 v[20:23], v131, s[8:9] offset:1040
	global_load_b128 v[44:47], v[44:45], off
	s_load_b128 s[4:7], s[6:7], 0x0
	s_mov_b32 s2, 0xe8584caa
	s_mov_b32 s3, 0x3febb67a
	s_wait_alu 0xfffe
	s_mov_b32 s12, s2
	v_cmp_gt_u16_e32 vcc_lo, 6, v72
	s_wait_loadcnt 0x7
	v_mul_f64_e32 v[48:49], v[26:27], v[2:3]
	v_mul_f64_e32 v[50:51], v[24:25], v[2:3]
	s_wait_loadcnt 0x6
	v_mul_f64_e32 v[52:53], v[30:31], v[6:7]
	v_mul_f64_e32 v[54:55], v[28:29], v[6:7]
	s_wait_loadcnt 0x5
	v_mul_f64_e32 v[56:57], v[34:35], v[10:11]
	v_mul_f64_e32 v[58:59], v[32:33], v[10:11]
	s_wait_loadcnt 0x4
	v_mul_f64_e32 v[60:61], v[38:39], v[14:15]
	v_mul_f64_e32 v[62:63], v[36:37], v[14:15]
	s_wait_loadcnt 0x2
	v_mul_f64_e32 v[64:65], v[42:43], v[18:19]
	v_mul_f64_e32 v[66:67], v[40:41], v[18:19]
	s_wait_loadcnt 0x0
	v_mul_f64_e32 v[68:69], v[46:47], v[22:23]
	v_mul_f64_e32 v[70:71], v[44:45], v[22:23]
	v_fma_f64 v[24:25], v[24:25], v[0:1], v[48:49]
	v_fma_f64 v[26:27], v[26:27], v[0:1], -v[50:51]
	v_mul_lo_u32 v48, v73, 19
	v_fma_f64 v[28:29], v[28:29], v[4:5], v[52:53]
	v_fma_f64 v[30:31], v[30:31], v[4:5], -v[54:55]
	v_fma_f64 v[32:33], v[32:33], v[8:9], v[56:57]
	v_fma_f64 v[34:35], v[34:35], v[8:9], -v[58:59]
	v_sub_nc_u32_e32 v48, v124, v48
	v_fma_f64 v[36:37], v[36:37], v[12:13], v[60:61]
	v_fma_f64 v[38:39], v[38:39], v[12:13], -v[62:63]
	v_fma_f64 v[40:41], v[40:41], v[16:17], v[64:65]
	v_fma_f64 v[42:43], v[42:43], v[16:17], -v[66:67]
	;; [unrolled: 2-line block ×3, first 2 shown]
	v_mul_u32_u24_e32 v48, 0x4e, v48
                                        ; implicit-def: $vgpr68_vgpr69
	s_delay_alu instid0(VALU_DEP_1) | instskip(NEXT) | instid1(VALU_DEP_1)
	v_lshlrev_b32_e32 v64, 4, v48
	v_add_nc_u32_e32 v255, v131, v64
	ds_store_b128 v255, v[24:27]
	ds_store_b128 v255, v[28:31] offset:208
	ds_store_b128 v255, v[32:35] offset:416
	;; [unrolled: 1-line block ×5, first 2 shown]
	global_wb scope:SCOPE_SE
	s_wait_dscnt 0x0
	s_wait_kmcnt 0x0
	s_barrier_signal -1
	s_barrier_wait -1
	global_inv scope:SCOPE_SE
	ds_load_b128 v[24:27], v255 offset:624
	ds_load_b128 v[28:31], v255 offset:1040
	;; [unrolled: 1-line block ×3, first 2 shown]
	s_wait_dscnt 0x1
	v_add_f64_e32 v[36:37], v[26:27], v[30:31]
	v_add_f64_e32 v[38:39], v[24:25], v[28:29]
	v_add_f64_e64 v[44:45], v[26:27], -v[30:31]
	v_add_f64_e64 v[46:47], v[24:25], -v[28:29]
	s_wait_dscnt 0x0
	v_add_f64_e32 v[24:25], v[32:33], v[24:25]
	v_add_f64_e32 v[26:27], v[34:35], v[26:27]
	v_fma_f64 v[48:49], v[36:37], -0.5, v[34:35]
	v_fma_f64 v[50:51], v[38:39], -0.5, v[32:33]
	ds_load_b128 v[36:39], v255 offset:416
	ds_load_b128 v[40:43], v255 offset:832
	scratch_store_b32 off, v64, off offset:4 ; 4-byte Folded Spill
	v_add_f64_e32 v[24:25], v[24:25], v[28:29]
	v_add_f64_e32 v[26:27], v[26:27], v[30:31]
	s_wait_dscnt 0x0
	v_add_f64_e32 v[52:53], v[36:37], v[40:41]
	v_add_f64_e32 v[54:55], v[38:39], v[42:43]
	v_add_f64_e64 v[62:63], v[38:39], -v[42:43]
	v_add_f64_e64 v[34:35], v[36:37], -v[40:41]
	s_wait_alu 0xfffe
	v_fma_f64 v[56:57], v[46:47], s[12:13], v[48:49]
	v_fma_f64 v[58:59], v[44:45], s[12:13], v[50:51]
	;; [unrolled: 1-line block ×4, first 2 shown]
	ds_load_b128 v[44:47], v255
	global_wb scope:SCOPE_SE
	s_wait_storecnt_dscnt 0x0
	s_barrier_signal -1
	s_barrier_wait -1
	global_inv scope:SCOPE_SE
	v_add_f64_e32 v[60:61], v[44:45], v[36:37]
	v_add_f64_e32 v[38:39], v[46:47], v[38:39]
	v_fma_f64 v[32:33], v[52:53], -0.5, v[44:45]
	v_fma_f64 v[36:37], v[54:55], -0.5, v[46:47]
	v_mul_f64_e32 v[44:45], s[2:3], v[56:57]
	v_mul_f64_e32 v[46:47], -0.5, v[58:59]
	v_mul_f64_e32 v[52:53], s[12:13], v[50:51]
	v_mul_f64_e32 v[54:55], -0.5, v[48:49]
	v_add_f64_e32 v[40:41], v[60:61], v[40:41]
	v_add_f64_e32 v[38:39], v[38:39], v[42:43]
	v_fma_f64 v[60:61], v[62:63], s[2:3], v[32:33]
	v_fma_f64 v[32:33], v[62:63], s[12:13], v[32:33]
	;; [unrolled: 1-line block ×4, first 2 shown]
	v_fma_f64 v[36:37], v[50:51], 0.5, v[44:45]
	v_fma_f64 v[44:45], v[48:49], s[2:3], v[46:47]
	v_fma_f64 v[46:47], v[56:57], 0.5, v[52:53]
	v_fma_f64 v[54:55], v[58:59], s[12:13], v[54:55]
	v_add_co_u32 v104, s2, s8, v131
	s_wait_alu 0xf1ff
	v_add_co_ci_u32_e64 v105, null, s9, 0, s2
	v_add_f64_e32 v[92:93], v[40:41], v[24:25]
	v_add_f64_e32 v[94:95], v[38:39], v[26:27]
	v_add_f64_e64 v[56:57], v[40:41], -v[24:25]
	v_add_f64_e64 v[58:59], v[38:39], -v[26:27]
	v_mul_lo_u16 v24, v72, 6
                                        ; implicit-def: $vgpr72_vgpr73
	s_delay_alu instid0(VALU_DEP_1)
	v_and_b32_e32 v24, 0xffff, v24
	v_add_f64_e32 v[28:29], v[60:61], v[36:37]
	v_add_f64_e32 v[40:41], v[32:33], v[44:45]
	;; [unrolled: 1-line block ×4, first 2 shown]
	v_add_f64_e64 v[48:49], v[60:61], -v[36:37]
	v_add_f64_e64 v[52:53], v[32:33], -v[44:45]
	;; [unrolled: 1-line block ×4, first 2 shown]
	v_lshl_add_u32 v132, v24, 4, v64
                                        ; implicit-def: $vgpr64_vgpr65
                                        ; implicit-def: $vgpr44_vgpr45
                                        ; implicit-def: $vgpr60_vgpr61
	ds_store_b128 v132, v[92:95]
	ds_store_b128 v132, v[28:31] offset:16
	ds_store_b128 v132, v[40:43] offset:32
	;; [unrolled: 1-line block ×5, first 2 shown]
	global_wb scope:SCOPE_SE
	s_wait_dscnt 0x0
	s_barrier_signal -1
	s_barrier_wait -1
	global_inv scope:SCOPE_SE
	s_and_saveexec_b32 s2, vcc_lo
	s_cbranch_execz .LBB0_3
; %bb.2:
	ds_load_b128 v[92:95], v255
	ds_load_b128 v[28:31], v255 offset:96
	ds_load_b128 v[40:43], v255 offset:192
	;; [unrolled: 1-line block ×12, first 2 shown]
.LBB0_3:
	s_wait_alu 0xfffe
	s_or_b32 exec_lo, exec_lo, s2
	v_and_b32_e32 v24, 0xff, v195
	s_mov_b32 s21, 0xbfddbe06
	s_mov_b32 s20, 0x4267c47c
	s_mov_b32 s24, 0x42a4c3d2
	s_mov_b32 s25, 0xbfea55e2
	v_mul_lo_u16 v24, 0xab, v24
	s_mov_b32 s2, 0x1ea71119
	s_mov_b32 s3, 0x3fe22d96
	;; [unrolled: 1-line block ×4, first 2 shown]
	v_lshrrev_b16 v24, 10, v24
	s_mov_b32 s12, 0xebaa3ed8
	s_mov_b32 s13, 0x3fbedb7d
	;; [unrolled: 1-line block ×4, first 2 shown]
	v_mul_lo_u16 v24, v24, 6
	s_mov_b32 s14, 0xb2365da1
	s_mov_b32 s15, 0xbfd6b1d8
	s_mov_b32 s26, 0x24c2f84
	s_mov_b32 s27, 0xbfe5384d
	v_sub_nc_u16 v24, v195, v24
	s_mov_b32 s16, 0xd0032e0c
	s_mov_b32 s17, 0xbfe7f3cc
	;; [unrolled: 1-line block ×4, first 2 shown]
	v_mul_lo_u16 v24, v24, 12
	s_mov_b32 s18, 0x93053d00
	s_mov_b32 s19, 0xbfef11f4
	;; [unrolled: 1-line block ×4, first 2 shown]
	v_and_b32_e32 v24, 0xfc, v24
	s_mov_b32 s35, 0x3fefc445
	s_mov_b32 s34, s28
	;; [unrolled: 1-line block ×4, first 2 shown]
	v_lshlrev_b32_e32 v86, 4, v24
	s_clause 0x1
	global_load_b128 v[24:27], v86, s[10:11]
	global_load_b128 v[32:35], v86, s[10:11] offset:16
	s_wait_loadcnt_dscnt 0x10b
	v_mul_f64_e32 v[36:37], v[28:29], v[26:27]
	s_delay_alu instid0(VALU_DEP_1) | instskip(SKIP_1) | instid1(VALU_DEP_1)
	v_fma_f64 v[151:152], v[30:31], v[24:25], v[36:37]
	v_mul_f64_e32 v[30:31], v[30:31], v[26:27]
	v_fma_f64 v[153:154], v[28:29], v[24:25], -v[30:31]
	s_clause 0x1
	global_load_b128 v[28:31], v86, s[10:11] offset:176
	global_load_b128 v[36:39], v86, s[10:11] offset:160
	s_wait_loadcnt_dscnt 0x100
	v_mul_f64_e32 v[84:85], v[60:61], v[30:31]
	s_delay_alu instid0(VALU_DEP_1) | instskip(SKIP_1) | instid1(VALU_DEP_2)
	v_fma_f64 v[87:88], v[62:63], v[28:29], v[84:85]
	v_mul_f64_e32 v[62:63], v[62:63], v[30:31]
	v_add_f64_e64 v[96:97], v[151:152], -v[87:88]
	s_delay_alu instid0(VALU_DEP_2) | instskip(SKIP_2) | instid1(VALU_DEP_4)
	v_fma_f64 v[89:90], v[60:61], v[28:29], -v[62:63]
	v_mul_f64_e32 v[60:61], v[42:43], v[34:35]
	v_add_f64_e32 v[237:238], v[151:152], v[87:88]
	v_mul_f64_e32 v[171:172], s[28:29], v[96:97]
	s_delay_alu instid0(VALU_DEP_4) | instskip(NEXT) | instid1(VALU_DEP_4)
	v_add_f64_e32 v[201:202], v[153:154], v[89:90]
	v_fma_f64 v[108:109], v[40:41], v[32:33], -v[60:61]
	v_mul_f64_e32 v[40:41], v[40:41], v[34:35]
	v_add_f64_e64 v[100:101], v[153:154], -v[89:90]
	v_mul_f64_e32 v[191:192], s[26:27], v[96:97]
	s_delay_alu instid0(VALU_DEP_3) | instskip(SKIP_2) | instid1(VALU_DEP_4)
	v_fma_f64 v[110:111], v[42:43], v[32:33], v[40:41]
	s_wait_loadcnt 0x0
	v_mul_f64_e32 v[40:41], v[44:45], v[38:39]
	v_mul_f64_e32 v[233:234], s[20:21], v[100:101]
	s_delay_alu instid0(VALU_DEP_2) | instskip(SKIP_1) | instid1(VALU_DEP_2)
	v_fma_f64 v[106:107], v[46:47], v[36:37], v[40:41]
	v_mul_f64_e32 v[40:41], v[46:47], v[38:39]
	v_add_f64_e64 v[98:99], v[110:111], -v[106:107]
	s_delay_alu instid0(VALU_DEP_2)
	v_fma_f64 v[102:103], v[44:45], v[36:37], -v[40:41]
	s_clause 0x1
	global_load_b128 v[40:43], v86, s[10:11] offset:32
	global_load_b128 v[44:47], v86, s[10:11] offset:48
	v_add_f64_e32 v[161:162], v[110:111], v[106:107]
	v_mul_f64_e32 v[211:212], s[30:31], v[98:99]
	v_add_f64_e32 v[157:158], v[108:109], v[102:103]
	v_mul_f64_e32 v[243:244], s[36:37], v[98:99]
	v_mul_f64_e32 v[183:184], s[34:35], v[98:99]
	s_wait_loadcnt 0x1
	v_mul_f64_e32 v[60:61], v[58:59], v[42:43]
	s_delay_alu instid0(VALU_DEP_1) | instskip(SKIP_1) | instid1(VALU_DEP_1)
	v_fma_f64 v[112:113], v[56:57], v[40:41], -v[60:61]
	v_mul_f64_e32 v[56:57], v[56:57], v[42:43]
	v_fma_f64 v[114:115], v[58:59], v[40:41], v[56:57]
	s_wait_loadcnt 0x0
	v_mul_f64_e32 v[56:57], v[50:51], v[46:47]
	s_delay_alu instid0(VALU_DEP_1) | instskip(SKIP_1) | instid1(VALU_DEP_1)
	v_fma_f64 v[116:117], v[48:49], v[44:45], -v[56:57]
	v_mul_f64_e32 v[48:49], v[48:49], v[46:47]
	v_fma_f64 v[118:119], v[50:51], v[44:45], v[48:49]
	s_clause 0x1
	global_load_b128 v[48:51], v86, s[10:11] offset:64
	global_load_b128 v[60:63], v86, s[10:11] offset:80
	s_wait_loadcnt 0x1
	v_mul_f64_e32 v[56:57], v[54:55], v[50:51]
	s_delay_alu instid0(VALU_DEP_1) | instskip(SKIP_1) | instid1(VALU_DEP_1)
	v_fma_f64 v[120:121], v[52:53], v[48:49], -v[56:57]
	v_mul_f64_e32 v[52:53], v[52:53], v[50:51]
	v_fma_f64 v[122:123], v[54:55], v[48:49], v[52:53]
	s_wait_loadcnt 0x0
	v_mul_f64_e32 v[52:53], v[66:67], v[62:63]
	s_delay_alu instid0(VALU_DEP_1) | instskip(SKIP_1) | instid1(VALU_DEP_1)
	v_fma_f64 v[125:126], v[64:65], v[60:61], -v[52:53]
	v_mul_f64_e32 v[52:53], v[64:65], v[62:63]
	v_fma_f64 v[127:128], v[66:67], v[60:61], v[52:53]
	s_clause 0x1
	global_load_b128 v[64:67], v86, s[10:11] offset:96
	global_load_b128 v[56:59], v86, s[10:11] offset:112
	s_wait_loadcnt 0x1
	v_mul_f64_e32 v[52:53], v[70:71], v[66:67]
	s_delay_alu instid0(VALU_DEP_1) | instskip(SKIP_1) | instid1(VALU_DEP_2)
	v_fma_f64 v[129:130], v[68:69], v[64:65], -v[52:53]
	v_mul_f64_e32 v[52:53], v[68:69], v[66:67]
	v_add_f64_e32 v[189:190], v[125:126], v[129:130]
	s_delay_alu instid0(VALU_DEP_2)
	v_fma_f64 v[149:150], v[70:71], v[64:65], v[52:53]
	s_clause 0x1
	global_load_b128 v[52:55], v86, s[10:11] offset:144
	global_load_b128 v[68:71], v86, s[10:11] offset:128
	s_mov_b32 s10, 0xe00740e9
	s_mov_b32 s11, 0x3fec55a7
	v_add_f64_e64 v[147:148], v[125:126], -v[129:130]
	s_clause 0x1
	scratch_store_b64 off, v[89:90], off offset:16
	scratch_store_b64 off, v[87:88], off offset:8
	s_wait_alu 0xfffe
	v_fma_f64 v[86:87], v[157:158], s[16:17], v[243:244]
	v_fma_f64 v[90:91], v[157:158], s[12:13], v[183:184]
	v_add_f64_e32 v[193:194], v[127:128], v[149:150]
	v_mul_f64_e32 v[239:240], s[26:27], v[147:148]
	s_wait_loadcnt 0x1
	v_mul_f64_e32 v[84:85], v[80:81], v[54:55]
	s_delay_alu instid0(VALU_DEP_1) | instskip(SKIP_1) | instid1(VALU_DEP_2)
	v_fma_f64 v[84:85], v[82:83], v[52:53], v[84:85]
	v_mul_f64_e32 v[82:83], v[82:83], v[54:55]
	v_add_f64_e64 v[133:134], v[114:115], -v[84:85]
	s_delay_alu instid0(VALU_DEP_2) | instskip(SKIP_2) | instid1(VALU_DEP_4)
	v_fma_f64 v[82:83], v[80:81], v[52:53], -v[82:83]
	v_mul_f64_e32 v[80:81], v[74:75], v[58:59]
	v_add_f64_e32 v[169:170], v[114:115], v[84:85]
	v_mul_f64_e32 v[199:200], s[30:31], v[133:134]
	s_delay_alu instid0(VALU_DEP_4) | instskip(NEXT) | instid1(VALU_DEP_4)
	v_add_f64_e32 v[165:166], v[112:113], v[82:83]
	v_fma_f64 v[80:81], v[72:73], v[56:57], -v[80:81]
	v_mul_f64_e32 v[72:73], v[72:73], v[58:59]
	v_add_f64_e64 v[135:136], v[112:113], -v[82:83]
	v_mul_f64_e32 v[217:218], s[38:39], v[133:134]
	v_mul_f64_e32 v[179:180], s[24:25], v[133:134]
	v_add_f64_e32 v[181:182], v[120:121], v[80:81]
	v_fma_f64 v[145:146], v[74:75], v[56:57], v[72:73]
	s_wait_loadcnt 0x0
	v_mul_f64_e32 v[72:73], v[78:79], v[70:71]
	v_mul_f64_e32 v[74:75], s[24:25], v[98:99]
	v_add_f64_e64 v[143:144], v[120:121], -v[80:81]
	v_mul_f64_e32 v[207:208], s[30:31], v[135:136]
	v_mul_f64_e32 v[231:232], s[38:39], v[135:136]
	;; [unrolled: 1-line block ×3, first 2 shown]
	v_add_f64_e64 v[141:142], v[122:123], -v[145:146]
	v_fma_f64 v[139:140], v[76:77], v[68:69], -v[72:73]
	v_mul_f64_e32 v[72:73], v[76:77], v[70:71]
	scratch_store_b64 off, v[74:75], off offset:184 ; 8-byte Folded Spill
	v_fma_f64 v[74:75], v[157:158], s[2:3], v[74:75]
	v_add_f64_e32 v[185:186], v[122:123], v[145:146]
	v_mul_f64_e32 v[219:220], s[34:35], v[143:144]
	v_mul_f64_e32 v[241:242], s[24:25], v[143:144]
	;; [unrolled: 1-line block ×3, first 2 shown]
	v_add_f64_e32 v[173:174], v[116:117], v[139:140]
	v_fma_f64 v[78:79], v[78:79], v[68:69], v[72:73]
	v_mul_f64_e32 v[72:73], s[20:21], v[96:97]
	s_mov_b32 s21, 0x3fddbe06
	v_mul_f64_e32 v[229:230], s[24:25], v[141:142]
	s_wait_alu 0xfffe
	v_mul_f64_e32 v[221:222], s[20:21], v[147:148]
	v_mul_f64_e32 v[245:246], s[20:21], v[133:134]
	;; [unrolled: 1-line block ×3, first 2 shown]
	v_add_f64_e64 v[137:138], v[118:119], -v[78:79]
	scratch_store_b64 off, v[72:73], off offset:272 ; 8-byte Folded Spill
	v_fma_f64 v[72:73], v[201:202], s[10:11], v[72:73]
	s_clause 0x1
	scratch_store_b64 off, v[102:103], off offset:32
	scratch_store_b64 off, v[108:109], off offset:40
	v_add_f64_e64 v[102:103], v[108:109], -v[102:103]
	s_clause 0x1
	scratch_store_b64 off, v[106:107], off offset:24
	scratch_store_b64 off, v[110:111], off offset:48
	v_add_f64_e32 v[177:178], v[118:119], v[78:79]
	v_mul_f64_e32 v[108:109], s[24:25], v[96:97]
	v_mul_f64_e32 v[205:206], s[36:37], v[137:138]
	;; [unrolled: 1-line block ×3, first 2 shown]
	v_add_f64_e32 v[72:73], v[92:93], v[72:73]
	v_mul_f64_e32 v[247:248], s[28:29], v[137:138]
	v_mul_f64_e32 v[76:77], s[24:25], v[102:103]
	;; [unrolled: 1-line block ×5, first 2 shown]
	v_add_f64_e32 v[72:73], v[74:75], v[72:73]
	v_fma_f64 v[74:75], v[237:238], s[10:11], -v[233:234]
	scratch_store_b64 off, v[76:77], off offset:192 ; 8-byte Folded Spill
	v_fma_f64 v[76:77], v[161:162], s[2:3], -v[76:77]
	v_fma_f64 v[88:89], v[161:162], s[16:17], -v[249:250]
	v_add_f64_e32 v[74:75], v[94:95], v[74:75]
	s_delay_alu instid0(VALU_DEP_1)
	v_add_f64_e32 v[74:75], v[76:77], v[74:75]
	v_mul_f64_e32 v[76:77], s[28:29], v[133:134]
	v_mul_f64_e32 v[133:134], s[26:27], v[133:134]
	scratch_store_b64 off, v[76:77], off offset:200 ; 8-byte Folded Spill
	v_fma_f64 v[76:77], v[165:166], s[12:13], v[76:77]
	s_clause 0x3
	scratch_store_b64 off, v[112:113], off offset:56
	scratch_store_b64 off, v[82:83], off offset:144
	;; [unrolled: 1-line block ×4, first 2 shown]
	v_mul_f64_e32 v[112:113], s[24:25], v[100:101]
	v_fma_f64 v[82:83], v[157:158], s[18:19], v[211:212]
	v_fma_f64 v[84:85], v[161:162], s[18:19], -v[225:226]
	v_mul_f64_e32 v[114:115], s[20:21], v[141:142]
	v_add_f64_e32 v[72:73], v[76:77], v[72:73]
	v_mul_f64_e32 v[76:77], s[28:29], v[135:136]
	v_mul_f64_e32 v[135:136], s[26:27], v[135:136]
	scratch_store_b64 off, v[76:77], off offset:208 ; 8-byte Folded Spill
	v_fma_f64 v[76:77], v[169:170], s[12:13], -v[76:77]
	s_delay_alu instid0(VALU_DEP_1)
	v_add_f64_e32 v[74:75], v[76:77], v[74:75]
	v_mul_f64_e32 v[76:77], s[22:23], v[137:138]
	scratch_store_b64 off, v[76:77], off offset:216 ; 8-byte Folded Spill
	v_fma_f64 v[76:77], v[173:174], s[14:15], v[76:77]
	s_clause 0x1
	scratch_store_b64 off, v[116:117], off offset:72
	scratch_store_b64 off, v[139:140], off offset:160
	v_add_f64_e64 v[139:140], v[116:117], -v[139:140]
	s_clause 0x1
	scratch_store_b64 off, v[118:119], off offset:80
	scratch_store_b64 off, v[78:79], off offset:176
	v_mul_f64_e32 v[78:79], s[22:23], v[98:99]
	v_mul_f64_e32 v[116:117], s[20:21], v[143:144]
	v_add_f64_e32 v[72:73], v[76:77], v[72:73]
	v_mul_f64_e32 v[76:77], s[22:23], v[139:140]
	v_mul_f64_e32 v[215:216], s[36:37], v[139:140]
	;; [unrolled: 1-line block ×4, first 2 shown]
	s_mov_b32 s37, 0x3fea55e2
	s_mov_b32 s36, s24
	s_wait_alu 0xfffe
	v_mul_f64_e32 v[167:168], s[36:37], v[147:148]
	scratch_store_b64 off, v[76:77], off offset:224 ; 8-byte Folded Spill
	v_fma_f64 v[76:77], v[177:178], s[14:15], -v[76:77]
	s_delay_alu instid0(VALU_DEP_1)
	v_add_f64_e32 v[74:75], v[76:77], v[74:75]
	v_mul_f64_e32 v[76:77], s[26:27], v[141:142]
	scratch_store_b64 off, v[76:77], off offset:232 ; 8-byte Folded Spill
	v_fma_f64 v[76:77], v[181:182], s[16:17], v[76:77]
	s_clause 0x3
	scratch_store_b64 off, v[120:121], off offset:88
	scratch_store_b64 off, v[80:81], off offset:152
	;; [unrolled: 1-line block ×4, first 2 shown]
	v_add_f64_e64 v[145:146], v[127:128], -v[149:150]
	v_fma_f64 v[80:81], v[161:162], s[14:15], -v[203:204]
	v_mul_f64_e32 v[120:121], s[28:29], v[100:101]
	v_mul_f64_e32 v[122:123], s[22:23], v[96:97]
	s_mov_b32 s29, 0x3fcea1e5
	s_mov_b32 s28, s30
	s_wait_alu 0xfffe
	v_mul_f64_e32 v[251:252], s[28:29], v[141:142]
	v_mul_f64_e32 v[163:164], s[28:29], v[143:144]
	;; [unrolled: 1-line block ×7, first 2 shown]
	v_add_f64_e32 v[72:73], v[76:77], v[72:73]
	v_mul_f64_e32 v[76:77], s[26:27], v[143:144]
	v_mul_f64_e32 v[143:144], s[22:23], v[143:144]
	;; [unrolled: 1-line block ×5, first 2 shown]
	scratch_store_b64 off, v[76:77], off offset:240 ; 8-byte Folded Spill
	v_fma_f64 v[76:77], v[185:186], s[16:17], -v[76:77]
	s_delay_alu instid0(VALU_DEP_1)
	v_add_f64_e32 v[74:75], v[76:77], v[74:75]
	v_mul_f64_e32 v[76:77], s[30:31], v[145:146]
	scratch_store_b64 off, v[76:77], off offset:248 ; 8-byte Folded Spill
	v_fma_f64 v[76:77], v[189:190], s[18:19], v[76:77]
	s_clause 0x3
	scratch_store_b64 off, v[125:126], off offset:104
	scratch_store_b64 off, v[129:130], off offset:120
	;; [unrolled: 1-line block ×4, first 2 shown]
	v_mul_f64_e32 v[127:128], s[22:23], v[100:101]
	v_mul_f64_e32 v[129:130], s[26:27], v[100:101]
	;; [unrolled: 1-line block ×5, first 2 shown]
	scratch_store_b64 off, v[78:79], off offset:264 ; 8-byte Folded Spill
	v_fma_f64 v[78:79], v[157:158], s[14:15], v[78:79]
	scratch_store_b32 off, v195, off        ; 4-byte Folded Spill
	v_mul_f64_e32 v[195:196], s[20:21], v[98:99]
	v_add_f64_e32 v[72:73], v[76:77], v[72:73]
	v_mul_f64_e32 v[76:77], s[30:31], v[147:148]
	v_fma_f64 v[106:107], v[161:162], s[12:13], -v[125:126]
	v_fma_f64 v[197:198], v[161:162], s[10:11], v[102:103]
	v_fma_f64 v[102:103], v[161:162], s[10:11], -v[102:103]
	v_fma_f64 v[98:99], v[157:158], s[10:11], -v[195:196]
	v_fma_f64 v[195:196], v[157:158], s[10:11], v[195:196]
	scratch_store_b64 off, v[76:77], off offset:256 ; 8-byte Folded Spill
	v_fma_f64 v[76:77], v[193:194], s[18:19], -v[76:77]
	s_delay_alu instid0(VALU_DEP_1) | instskip(SKIP_1) | instid1(VALU_DEP_1)
	v_add_f64_e32 v[74:75], v[76:77], v[74:75]
	v_fma_f64 v[76:77], v[201:202], s[2:3], v[108:109]
	v_add_f64_e32 v[76:77], v[92:93], v[76:77]
	s_delay_alu instid0(VALU_DEP_1) | instskip(SKIP_1) | instid1(VALU_DEP_1)
	v_add_f64_e32 v[76:77], v[78:79], v[76:77]
	v_fma_f64 v[78:79], v[237:238], s[2:3], -v[112:113]
	v_add_f64_e32 v[78:79], v[94:95], v[78:79]
	s_delay_alu instid0(VALU_DEP_1) | instskip(SKIP_1) | instid1(VALU_DEP_1)
	v_add_f64_e32 v[78:79], v[80:81], v[78:79]
	v_fma_f64 v[80:81], v[165:166], s[18:19], v[199:200]
	v_add_f64_e32 v[76:77], v[80:81], v[76:77]
	v_fma_f64 v[80:81], v[169:170], s[18:19], -v[207:208]
	s_delay_alu instid0(VALU_DEP_1) | instskip(SKIP_1) | instid1(VALU_DEP_1)
	v_add_f64_e32 v[78:79], v[80:81], v[78:79]
	v_fma_f64 v[80:81], v[173:174], s[16:17], v[205:206]
	v_add_f64_e32 v[76:77], v[80:81], v[76:77]
	v_fma_f64 v[80:81], v[177:178], s[16:17], -v[215:216]
	s_delay_alu instid0(VALU_DEP_1) | instskip(SKIP_1) | instid1(VALU_DEP_1)
	v_add_f64_e32 v[78:79], v[80:81], v[78:79]
	v_fma_f64 v[80:81], v[181:182], s[12:13], v[213:214]
	v_add_f64_e32 v[76:77], v[80:81], v[76:77]
	v_fma_f64 v[80:81], v[185:186], s[12:13], -v[219:220]
	s_delay_alu instid0(VALU_DEP_1) | instskip(SKIP_1) | instid1(VALU_DEP_1)
	v_add_f64_e32 v[78:79], v[80:81], v[78:79]
	v_fma_f64 v[80:81], v[189:190], s[10:11], v[209:210]
	v_add_f64_e32 v[76:77], v[80:81], v[76:77]
	v_fma_f64 v[80:81], v[193:194], s[10:11], -v[221:222]
	s_delay_alu instid0(VALU_DEP_1) | instskip(SKIP_1) | instid1(VALU_DEP_1)
	v_add_f64_e32 v[78:79], v[80:81], v[78:79]
	v_fma_f64 v[80:81], v[201:202], s[12:13], v[171:172]
	v_add_f64_e32 v[80:81], v[92:93], v[80:81]
	s_delay_alu instid0(VALU_DEP_1) | instskip(SKIP_1) | instid1(VALU_DEP_1)
	v_add_f64_e32 v[80:81], v[82:83], v[80:81]
	v_fma_f64 v[82:83], v[237:238], s[12:13], -v[120:121]
	v_add_f64_e32 v[82:83], v[94:95], v[82:83]
	s_delay_alu instid0(VALU_DEP_1) | instskip(SKIP_1) | instid1(VALU_DEP_1)
	v_add_f64_e32 v[82:83], v[84:85], v[82:83]
	v_fma_f64 v[84:85], v[165:166], s[14:15], v[217:218]
	v_add_f64_e32 v[80:81], v[84:85], v[80:81]
	v_fma_f64 v[84:85], v[169:170], s[14:15], -v[231:232]
	s_delay_alu instid0(VALU_DEP_1) | instskip(SKIP_1) | instid1(VALU_DEP_1)
	v_add_f64_e32 v[82:83], v[84:85], v[82:83]
	v_fma_f64 v[84:85], v[173:174], s[10:11], v[227:228]
	v_add_f64_e32 v[80:81], v[84:85], v[80:81]
	v_fma_f64 v[84:85], v[177:178], s[10:11], -v[235:236]
	s_delay_alu instid0(VALU_DEP_1) | instskip(SKIP_1) | instid1(VALU_DEP_1)
	v_add_f64_e32 v[82:83], v[84:85], v[82:83]
	v_fma_f64 v[84:85], v[181:182], s[2:3], v[229:230]
	v_add_f64_e32 v[80:81], v[84:85], v[80:81]
	v_fma_f64 v[84:85], v[185:186], s[2:3], -v[241:242]
	s_delay_alu instid0(VALU_DEP_1) | instskip(SKIP_1) | instid1(VALU_DEP_1)
	v_add_f64_e32 v[82:83], v[84:85], v[82:83]
	v_fma_f64 v[84:85], v[189:190], s[16:17], v[223:224]
	v_add_f64_e32 v[80:81], v[84:85], v[80:81]
	;; [unrolled: 28-line block ×3, first 2 shown]
	v_fma_f64 v[88:89], v[193:194], s[2:3], -v[167:168]
	s_delay_alu instid0(VALU_DEP_1) | instskip(SKIP_1) | instid1(VALU_DEP_1)
	v_add_f64_e32 v[86:87], v[88:89], v[86:87]
	v_fma_f64 v[88:89], v[201:202], s[16:17], v[191:192]
	v_add_f64_e32 v[88:89], v[92:93], v[88:89]
	s_delay_alu instid0(VALU_DEP_1) | instskip(SKIP_1) | instid1(VALU_DEP_1)
	v_add_f64_e32 v[88:89], v[90:91], v[88:89]
	v_fma_f64 v[90:91], v[237:238], s[16:17], -v[129:130]
	v_add_f64_e32 v[90:91], v[94:95], v[90:91]
	s_delay_alu instid0(VALU_DEP_1) | instskip(SKIP_1) | instid1(VALU_DEP_1)
	v_add_f64_e32 v[90:91], v[106:107], v[90:91]
	v_fma_f64 v[106:107], v[165:166], s[2:3], v[179:180]
	v_add_f64_e32 v[88:89], v[106:107], v[88:89]
	v_fma_f64 v[106:107], v[169:170], s[2:3], -v[187:188]
	s_delay_alu instid0(VALU_DEP_1) | instskip(SKIP_1) | instid1(VALU_DEP_1)
	v_add_f64_e32 v[90:91], v[106:107], v[90:91]
	v_fma_f64 v[106:107], v[173:174], s[18:19], v[175:176]
	v_add_f64_e32 v[88:89], v[106:107], v[88:89]
	v_fma_f64 v[106:107], v[177:178], s[18:19], -v[118:119]
	;; [unrolled: 5-line block ×3, first 2 shown]
	s_delay_alu instid0(VALU_DEP_1) | instskip(SKIP_2) | instid1(VALU_DEP_2)
	v_add_f64_e32 v[90:91], v[106:107], v[90:91]
	v_mul_f64_e32 v[106:107], s[22:23], v[145:146]
	v_mul_f64_e32 v[145:146], s[34:35], v[145:146]
	v_fma_f64 v[110:111], v[189:190], s[14:15], v[106:107]
	s_delay_alu instid0(VALU_DEP_1) | instskip(SKIP_2) | instid1(VALU_DEP_2)
	v_add_f64_e32 v[88:89], v[110:111], v[88:89]
	v_mul_f64_e32 v[110:111], s[22:23], v[147:148]
	v_mul_f64_e32 v[147:148], s[34:35], v[147:148]
	v_fma_f64 v[149:150], v[193:194], s[14:15], -v[110:111]
	s_delay_alu instid0(VALU_DEP_1) | instskip(SKIP_1) | instid1(VALU_DEP_1)
	v_add_f64_e32 v[90:91], v[149:150], v[90:91]
	v_mul_f64_e32 v[149:150], s[30:31], v[96:97]
	v_fma_f64 v[96:97], v[201:202], s[18:19], -v[149:150]
	v_fma_f64 v[149:150], v[201:202], s[18:19], v[149:150]
	s_delay_alu instid0(VALU_DEP_2) | instskip(NEXT) | instid1(VALU_DEP_2)
	v_add_f64_e32 v[96:97], v[92:93], v[96:97]
	v_add_f64_e32 v[149:150], v[92:93], v[149:150]
	s_delay_alu instid0(VALU_DEP_2) | instskip(SKIP_2) | instid1(VALU_DEP_4)
	v_add_f64_e32 v[96:97], v[98:99], v[96:97]
	v_fma_f64 v[98:99], v[237:238], s[18:19], v[100:101]
	v_fma_f64 v[100:101], v[237:238], s[18:19], -v[100:101]
	v_add_f64_e32 v[149:150], v[195:196], v[149:150]
	scratch_load_b32 v195, off, off         ; 4-byte Folded Reload
	v_add_f64_e32 v[98:99], v[94:95], v[98:99]
	v_add_f64_e32 v[100:101], v[94:95], v[100:101]
	s_delay_alu instid0(VALU_DEP_2) | instskip(SKIP_1) | instid1(VALU_DEP_3)
	v_add_f64_e32 v[98:99], v[197:198], v[98:99]
	v_fma_f64 v[197:198], v[165:166], s[16:17], -v[133:134]
	v_add_f64_e32 v[100:101], v[102:103], v[100:101]
	v_fma_f64 v[102:103], v[165:166], s[16:17], v[133:134]
	v_fma_f64 v[133:134], v[169:170], s[16:17], -v[135:136]
	s_delay_alu instid0(VALU_DEP_4) | instskip(SKIP_1) | instid1(VALU_DEP_4)
	v_add_f64_e32 v[96:97], v[197:198], v[96:97]
	v_fma_f64 v[197:198], v[169:170], s[16:17], v[135:136]
	v_add_f64_e32 v[102:103], v[102:103], v[149:150]
	s_delay_alu instid0(VALU_DEP_4) | instskip(SKIP_4) | instid1(VALU_DEP_4)
	v_add_f64_e32 v[100:101], v[133:134], v[100:101]
	v_fma_f64 v[133:134], v[173:174], s[2:3], v[137:138]
	v_fma_f64 v[135:136], v[193:194], s[12:13], -v[147:148]
	v_add_f64_e32 v[98:99], v[197:198], v[98:99]
	v_fma_f64 v[197:198], v[173:174], s[2:3], -v[137:138]
	v_add_f64_e32 v[102:103], v[133:134], v[102:103]
	v_fma_f64 v[133:134], v[177:178], s[2:3], -v[139:140]
	s_delay_alu instid0(VALU_DEP_3) | instskip(SKIP_1) | instid1(VALU_DEP_3)
	v_add_f64_e32 v[96:97], v[197:198], v[96:97]
	v_fma_f64 v[197:198], v[177:178], s[2:3], v[139:140]
	v_add_f64_e32 v[100:101], v[133:134], v[100:101]
	v_fma_f64 v[133:134], v[181:182], s[14:15], v[141:142]
	s_delay_alu instid0(VALU_DEP_3) | instskip(SKIP_1) | instid1(VALU_DEP_3)
	v_add_f64_e32 v[98:99], v[197:198], v[98:99]
	v_fma_f64 v[197:198], v[181:182], s[14:15], -v[141:142]
	v_add_f64_e32 v[102:103], v[133:134], v[102:103]
	v_fma_f64 v[133:134], v[185:186], s[14:15], -v[143:144]
	s_delay_alu instid0(VALU_DEP_3) | instskip(SKIP_1) | instid1(VALU_DEP_3)
	v_add_f64_e32 v[96:97], v[197:198], v[96:97]
	v_fma_f64 v[197:198], v[185:186], s[14:15], v[143:144]
	v_add_f64_e32 v[133:134], v[133:134], v[100:101]
	v_fma_f64 v[100:101], v[189:190], s[12:13], v[145:146]
	s_delay_alu instid0(VALU_DEP_3) | instskip(SKIP_1) | instid1(VALU_DEP_3)
	v_add_f64_e32 v[98:99], v[197:198], v[98:99]
	v_fma_f64 v[197:198], v[189:190], s[12:13], -v[145:146]
	v_add_f64_e32 v[100:101], v[100:101], v[102:103]
	v_add_f64_e32 v[102:103], v[135:136], v[133:134]
	s_delay_alu instid0(VALU_DEP_3) | instskip(SKIP_1) | instid1(VALU_DEP_1)
	v_add_f64_e32 v[96:97], v[197:198], v[96:97]
	v_fma_f64 v[197:198], v[193:194], s[12:13], v[147:148]
	v_add_f64_e32 v[98:99], v[197:198], v[98:99]
	s_and_saveexec_b32 s20, vcc_lo
	s_cbranch_execz .LBB0_5
; %bb.4:
	scratch_load_b64 v[141:142], off, off offset:272 th:TH_LOAD_LU ; 8-byte Folded Reload
	v_mul_f64_e32 v[135:136], s[14:15], v[237:238]
	v_mul_f64_e32 v[133:134], s[16:17], v[237:238]
	;; [unrolled: 1-line block ×4, first 2 shown]
	v_add_f64_e32 v[143:144], v[92:93], v[153:154]
	v_mul_f64_e32 v[147:148], s[18:19], v[177:178]
	v_mul_f64_e32 v[149:150], s[10:11], v[185:186]
	v_add_f64_e32 v[127:128], v[127:128], v[135:136]
	v_mul_f64_e32 v[135:136], s[14:15], v[201:202]
	v_add_f64_e32 v[129:130], v[129:130], v[133:134]
	;; [unrolled: 2-line block ×3, first 2 shown]
	v_add_f64_e32 v[118:119], v[118:119], v[147:148]
	v_mul_f64_e32 v[147:148], s[18:19], v[173:174]
	v_add_f64_e32 v[116:117], v[116:117], v[149:150]
	v_add_f64_e32 v[127:128], v[94:95], v[127:128]
	v_add_f64_e64 v[122:123], v[135:136], -v[122:123]
	v_mul_f64_e32 v[135:136], s[12:13], v[237:238]
	v_add_f64_e64 v[133:134], v[133:134], -v[191:192]
	v_add_f64_e32 v[129:130], v[94:95], v[129:130]
	v_add_f64_e32 v[137:138], v[94:95], v[137:138]
	v_add_f64_e64 v[147:148], v[147:148], -v[175:176]
	v_add_f64_e32 v[122:123], v[92:93], v[122:123]
	v_add_f64_e32 v[120:121], v[120:121], v[135:136]
	v_mul_f64_e32 v[135:136], s[2:3], v[237:238]
	v_add_f64_e32 v[133:134], v[92:93], v[133:134]
	s_delay_alu instid0(VALU_DEP_3) | instskip(NEXT) | instid1(VALU_DEP_3)
	v_add_f64_e32 v[120:121], v[94:95], v[120:121]
	v_add_f64_e32 v[112:113], v[112:113], v[135:136]
	v_mul_f64_e32 v[135:136], s[2:3], v[201:202]
	s_delay_alu instid0(VALU_DEP_2) | instskip(NEXT) | instid1(VALU_DEP_2)
	v_add_f64_e32 v[112:113], v[94:95], v[112:113]
	v_add_f64_e64 v[108:109], v[135:136], -v[108:109]
	v_mul_f64_e32 v[135:136], s[12:13], v[201:202]
	s_delay_alu instid0(VALU_DEP_2) | instskip(NEXT) | instid1(VALU_DEP_2)
	v_add_f64_e32 v[145:146], v[92:93], v[108:109]
	v_add_f64_e64 v[135:136], v[135:136], -v[171:172]
	v_mul_f64_e32 v[108:109], s[2:3], v[169:170]
	s_delay_alu instid0(VALU_DEP_2) | instskip(NEXT) | instid1(VALU_DEP_2)
	v_add_f64_e32 v[135:136], v[92:93], v[135:136]
	v_add_f64_e32 v[108:109], v[187:188], v[108:109]
	s_wait_loadcnt 0x0
	v_add_f64_e64 v[139:140], v[139:140], -v[141:142]
	v_add_f64_e32 v[141:142], v[94:95], v[151:152]
	v_mul_f64_e32 v[94:95], s[12:13], v[157:158]
	s_delay_alu instid0(VALU_DEP_3) | instskip(SKIP_1) | instid1(VALU_DEP_3)
	v_add_f64_e32 v[139:140], v[92:93], v[139:140]
	v_mul_f64_e32 v[92:93], s[12:13], v[161:162]
	v_add_f64_e64 v[94:95], v[94:95], -v[183:184]
	s_delay_alu instid0(VALU_DEP_2) | instskip(SKIP_1) | instid1(VALU_DEP_3)
	v_add_f64_e32 v[92:93], v[125:126], v[92:93]
	v_mul_f64_e32 v[125:126], s[2:3], v[165:166]
	v_add_f64_e32 v[94:95], v[94:95], v[133:134]
	s_delay_alu instid0(VALU_DEP_3) | instskip(NEXT) | instid1(VALU_DEP_3)
	v_add_f64_e32 v[92:93], v[92:93], v[129:130]
	v_add_f64_e64 v[125:126], v[125:126], -v[179:180]
	v_mul_f64_e32 v[129:130], s[10:11], v[181:182]
	s_delay_alu instid0(VALU_DEP_3) | instskip(NEXT) | instid1(VALU_DEP_3)
	v_add_f64_e32 v[92:93], v[108:109], v[92:93]
	v_add_f64_e32 v[94:95], v[125:126], v[94:95]
	v_mul_f64_e32 v[108:109], s[14:15], v[193:194]
	s_delay_alu instid0(VALU_DEP_4)
	v_add_f64_e64 v[114:115], v[129:130], -v[114:115]
	v_mul_f64_e32 v[125:126], s[18:19], v[185:186]
	v_mul_f64_e32 v[129:130], s[2:3], v[185:186]
	v_add_f64_e32 v[92:93], v[118:119], v[92:93]
	v_add_f64_e32 v[94:95], v[147:148], v[94:95]
	;; [unrolled: 1-line block ×3, first 2 shown]
	v_mul_f64_e32 v[110:111], s[14:15], v[189:190]
	v_mul_f64_e32 v[118:119], s[12:13], v[173:174]
	v_add_f64_e32 v[125:126], v[163:164], v[125:126]
	v_add_f64_e32 v[129:130], v[241:242], v[129:130]
	;; [unrolled: 1-line block ×3, first 2 shown]
	v_mul_f64_e32 v[116:117], s[12:13], v[177:178]
	v_add_f64_e64 v[106:107], v[110:111], -v[106:107]
	v_add_f64_e32 v[110:111], v[114:115], v[94:95]
	v_mul_f64_e32 v[114:115], s[10:11], v[165:166]
	v_add_f64_e64 v[118:119], v[118:119], -v[247:248]
	v_add_f64_e32 v[94:95], v[108:109], v[92:93]
	v_mul_f64_e32 v[108:109], s[16:17], v[157:158]
	v_add_f64_e32 v[116:117], v[159:160], v[116:117]
	v_add_f64_e32 v[92:93], v[106:107], v[110:111]
	v_mul_f64_e32 v[106:107], s[16:17], v[161:162]
	v_mul_f64_e32 v[110:111], s[10:11], v[169:170]
	v_add_f64_e64 v[114:115], v[114:115], -v[245:246]
	v_add_f64_e64 v[108:109], v[108:109], -v[243:244]
	s_delay_alu instid0(VALU_DEP_4) | instskip(NEXT) | instid1(VALU_DEP_4)
	v_add_f64_e32 v[106:107], v[249:250], v[106:107]
	v_add_f64_e32 v[110:111], v[155:156], v[110:111]
	s_delay_alu instid0(VALU_DEP_3) | instskip(SKIP_1) | instid1(VALU_DEP_4)
	v_add_f64_e32 v[108:109], v[108:109], v[122:123]
	v_mul_f64_e32 v[122:123], s[18:19], v[181:182]
	v_add_f64_e32 v[106:107], v[106:107], v[127:128]
	v_mul_f64_e32 v[127:128], s[12:13], v[185:186]
	s_delay_alu instid0(VALU_DEP_4) | instskip(NEXT) | instid1(VALU_DEP_4)
	v_add_f64_e32 v[108:109], v[114:115], v[108:109]
	v_add_f64_e64 v[122:123], v[122:123], -v[251:252]
	v_mul_f64_e32 v[114:115], s[2:3], v[189:190]
	v_add_f64_e32 v[106:107], v[110:111], v[106:107]
	v_mul_f64_e32 v[110:111], s[2:3], v[193:194]
	v_add_f64_e32 v[127:128], v[219:220], v[127:128]
	v_add_f64_e32 v[108:109], v[118:119], v[108:109]
	v_mul_f64_e32 v[118:119], s[18:19], v[165:166]
	v_add_f64_e64 v[114:115], v[114:115], -v[253:254]
	v_add_f64_e32 v[106:107], v[116:117], v[106:107]
	v_add_f64_e32 v[110:111], v[167:168], v[110:111]
	v_add_f64_e32 v[116:117], v[122:123], v[108:109]
	v_add_f64_e64 v[118:119], v[118:119], -v[199:200]
	v_mul_f64_e32 v[122:123], s[16:17], v[177:178]
	v_add_f64_e32 v[106:107], v[125:126], v[106:107]
	v_mul_f64_e32 v[125:126], s[16:17], v[173:174]
	s_delay_alu instid0(VALU_DEP_3) | instskip(NEXT) | instid1(VALU_DEP_3)
	v_add_f64_e32 v[122:123], v[215:216], v[122:123]
	v_add_f64_e32 v[108:109], v[110:111], v[106:107]
	;; [unrolled: 1-line block ×3, first 2 shown]
	scratch_load_b64 v[116:117], off, off offset:264 th:TH_LOAD_LU ; 8-byte Folded Reload
	v_mul_f64_e32 v[110:111], s[14:15], v[161:162]
	v_mul_f64_e32 v[114:115], s[14:15], v[157:158]
	v_add_f64_e64 v[125:126], v[125:126], -v[205:206]
	s_delay_alu instid0(VALU_DEP_3) | instskip(NEXT) | instid1(VALU_DEP_1)
	v_add_f64_e32 v[110:111], v[203:204], v[110:111]
	v_add_f64_e32 v[110:111], v[110:111], v[112:113]
	s_wait_loadcnt 0x0
	s_delay_alu instid0(VALU_DEP_4) | instskip(SKIP_1) | instid1(VALU_DEP_2)
	v_add_f64_e64 v[114:115], v[114:115], -v[116:117]
	v_mul_f64_e32 v[116:117], s[18:19], v[169:170]
	v_add_f64_e32 v[112:113], v[114:115], v[145:146]
	s_delay_alu instid0(VALU_DEP_2) | instskip(SKIP_1) | instid1(VALU_DEP_3)
	v_add_f64_e32 v[116:117], v[207:208], v[116:117]
	v_mul_f64_e32 v[114:115], s[12:13], v[181:182]
	v_add_f64_e32 v[112:113], v[118:119], v[112:113]
	s_delay_alu instid0(VALU_DEP_3) | instskip(NEXT) | instid1(VALU_DEP_3)
	v_add_f64_e32 v[110:111], v[116:117], v[110:111]
	v_add_f64_e64 v[114:115], v[114:115], -v[213:214]
	v_mul_f64_e32 v[116:117], s[10:11], v[193:194]
	v_mul_f64_e32 v[118:119], s[10:11], v[189:190]
	v_add_f64_e32 v[112:113], v[125:126], v[112:113]
	v_add_f64_e32 v[110:111], v[122:123], v[110:111]
	v_mul_f64_e32 v[122:123], s[14:15], v[165:166]
	v_add_f64_e32 v[116:117], v[221:222], v[116:117]
	v_add_f64_e64 v[118:119], v[118:119], -v[209:210]
	v_mul_f64_e32 v[125:126], s[10:11], v[177:178]
	v_add_f64_e32 v[114:115], v[114:115], v[112:113]
	v_add_f64_e32 v[110:111], v[127:128], v[110:111]
	v_add_f64_e64 v[122:123], v[122:123], -v[217:218]
	v_mul_f64_e32 v[127:128], s[10:11], v[173:174]
	v_add_f64_e32 v[125:126], v[235:236], v[125:126]
	s_delay_alu instid0(VALU_DEP_4)
	v_add_f64_e32 v[112:113], v[116:117], v[110:111]
	v_add_f64_e32 v[110:111], v[118:119], v[114:115]
	v_mul_f64_e32 v[114:115], s[18:19], v[161:162]
	v_mul_f64_e32 v[116:117], s[18:19], v[157:158]
	v_mul_f64_e32 v[118:119], s[14:15], v[169:170]
	v_add_f64_e64 v[127:128], v[127:128], -v[227:228]
	s_delay_alu instid0(VALU_DEP_4) | instskip(NEXT) | instid1(VALU_DEP_4)
	v_add_f64_e32 v[114:115], v[225:226], v[114:115]
	v_add_f64_e64 v[116:117], v[116:117], -v[211:212]
	s_delay_alu instid0(VALU_DEP_4) | instskip(NEXT) | instid1(VALU_DEP_3)
	v_add_f64_e32 v[118:119], v[231:232], v[118:119]
	v_add_f64_e32 v[114:115], v[114:115], v[120:121]
	s_delay_alu instid0(VALU_DEP_3)
	v_add_f64_e32 v[116:117], v[116:117], v[135:136]
	v_mul_f64_e32 v[120:121], s[2:3], v[181:182]
	scratch_load_b64 v[135:136], off, off offset:240 th:TH_LOAD_LU ; 8-byte Folded Reload
	v_add_f64_e32 v[114:115], v[118:119], v[114:115]
	v_add_f64_e32 v[116:117], v[122:123], v[116:117]
	v_add_f64_e64 v[120:121], v[120:121], -v[229:230]
	v_mul_f64_e32 v[118:119], s[16:17], v[193:194]
	v_mul_f64_e32 v[122:123], s[16:17], v[189:190]
	v_add_f64_e32 v[114:115], v[125:126], v[114:115]
	v_add_f64_e32 v[116:117], v[127:128], v[116:117]
	s_clause 0x1
	scratch_load_b64 v[125:126], off, off offset:208 th:TH_LOAD_LU
	scratch_load_b64 v[127:128], off, off offset:200 th:TH_LOAD_LU
	v_add_f64_e32 v[118:119], v[239:240], v[118:119]
	v_add_f64_e64 v[122:123], v[122:123], -v[223:224]
	v_add_f64_e32 v[114:115], v[129:130], v[114:115]
	v_add_f64_e32 v[120:121], v[120:121], v[116:117]
	scratch_load_b64 v[129:130], off, off offset:224 th:TH_LOAD_LU ; 8-byte Folded Reload
	v_add_f64_e32 v[116:117], v[118:119], v[114:115]
	v_add_f64_e32 v[114:115], v[122:123], v[120:121]
	s_clause 0x1
	scratch_load_b64 v[120:121], off, off offset:192 th:TH_LOAD_LU
	scratch_load_b64 v[122:123], off, off offset:184 th:TH_LOAD_LU
	v_mul_f64_e32 v[118:119], s[2:3], v[161:162]
	s_wait_loadcnt 0x1
	s_delay_alu instid0(VALU_DEP_1) | instskip(SKIP_1) | instid1(VALU_DEP_2)
	v_add_f64_e32 v[118:119], v[120:121], v[118:119]
	v_mul_f64_e32 v[120:121], s[2:3], v[157:158]
	v_add_f64_e32 v[118:119], v[118:119], v[137:138]
	s_wait_loadcnt 0x0
	s_delay_alu instid0(VALU_DEP_2)
	v_add_f64_e64 v[120:121], v[120:121], -v[122:123]
	v_mul_f64_e32 v[122:123], s[12:13], v[169:170]
	s_clause 0x1
	scratch_load_b64 v[137:138], off, off offset:232 th:TH_LOAD_LU
	scratch_load_b64 v[133:134], off, off offset:216 th:TH_LOAD_LU
	v_add_f64_e32 v[120:121], v[120:121], v[139:140]
	v_add_f64_e32 v[122:123], v[125:126], v[122:123]
	v_mul_f64_e32 v[125:126], s[12:13], v[165:166]
	s_delay_alu instid0(VALU_DEP_2) | instskip(NEXT) | instid1(VALU_DEP_2)
	v_add_f64_e32 v[118:119], v[122:123], v[118:119]
	v_add_f64_e64 v[125:126], v[125:126], -v[127:128]
	v_mul_f64_e32 v[127:128], s[14:15], v[177:178]
	v_mul_f64_e32 v[122:123], s[18:19], v[193:194]
	s_delay_alu instid0(VALU_DEP_3) | instskip(NEXT) | instid1(VALU_DEP_3)
	v_add_f64_e32 v[120:121], v[125:126], v[120:121]
	v_add_f64_e32 v[127:128], v[129:130], v[127:128]
	scratch_load_b64 v[125:126], off, off offset:256 th:TH_LOAD_LU ; 8-byte Folded Reload
	v_mul_f64_e32 v[129:130], s[14:15], v[173:174]
	v_add_f64_e32 v[118:119], v[127:128], v[118:119]
	scratch_load_b64 v[127:128], off, off offset:248 th:TH_LOAD_LU ; 8-byte Folded Reload
	s_wait_loadcnt 0x2
	v_add_f64_e64 v[129:130], v[129:130], -v[133:134]
	v_mul_f64_e32 v[133:134], s[16:17], v[185:186]
	s_delay_alu instid0(VALU_DEP_2) | instskip(NEXT) | instid1(VALU_DEP_2)
	v_add_f64_e32 v[120:121], v[129:130], v[120:121]
	v_add_f64_e32 v[133:134], v[135:136], v[133:134]
	v_mul_f64_e32 v[135:136], s[16:17], v[181:182]
	s_delay_alu instid0(VALU_DEP_2) | instskip(NEXT) | instid1(VALU_DEP_2)
	v_add_f64_e32 v[118:119], v[133:134], v[118:119]
	v_add_f64_e64 v[135:136], v[135:136], -v[137:138]
	s_wait_loadcnt 0x1
	v_add_f64_e32 v[122:123], v[125:126], v[122:123]
	v_mul_f64_e32 v[125:126], s[18:19], v[189:190]
	s_wait_loadcnt 0x0
	s_delay_alu instid0(VALU_DEP_1) | instskip(NEXT) | instid1(VALU_DEP_4)
	v_add_f64_e64 v[125:126], v[125:126], -v[127:128]
	v_add_f64_e32 v[127:128], v[135:136], v[120:121]
	s_delay_alu instid0(VALU_DEP_4)
	v_add_f64_e32 v[120:121], v[122:123], v[118:119]
	scratch_load_b64 v[122:123], off, off offset:48 th:TH_LOAD_LU ; 8-byte Folded Reload
	v_add_f64_e32 v[118:119], v[125:126], v[127:128]
	s_clause 0x1
	scratch_load_b64 v[127:128], off, off offset:64 th:TH_LOAD_LU
	scratch_load_b64 v[125:126], off, off offset:40 th:TH_LOAD_LU
	s_wait_loadcnt 0x2
	v_add_f64_e32 v[122:123], v[141:142], v[122:123]
	s_wait_loadcnt 0x1
	s_delay_alu instid0(VALU_DEP_1) | instskip(SKIP_4) | instid1(VALU_DEP_1)
	v_add_f64_e32 v[122:123], v[122:123], v[127:128]
	scratch_load_b64 v[127:128], off, off offset:56 th:TH_LOAD_LU ; 8-byte Folded Reload
	s_wait_loadcnt 0x1
	v_add_f64_e32 v[125:126], v[143:144], v[125:126]
	s_wait_loadcnt 0x0
	v_add_f64_e32 v[125:126], v[125:126], v[127:128]
	scratch_load_b64 v[127:128], off, off offset:80 th:TH_LOAD_LU ; 8-byte Folded Reload
	s_wait_loadcnt 0x0
	v_add_f64_e32 v[122:123], v[122:123], v[127:128]
	scratch_load_b64 v[127:128], off, off offset:72 th:TH_LOAD_LU ; 8-byte Folded Reload
	s_wait_loadcnt 0x0
	v_add_f64_e32 v[125:126], v[125:126], v[127:128]
	scratch_load_b64 v[127:128], off, off offset:96 th:TH_LOAD_LU ; 8-byte Folded Reload
	s_wait_loadcnt 0x0
	v_add_f64_e32 v[122:123], v[122:123], v[127:128]
	scratch_load_b64 v[127:128], off, off offset:88 th:TH_LOAD_LU ; 8-byte Folded Reload
	s_wait_loadcnt 0x0
	v_add_f64_e32 v[125:126], v[125:126], v[127:128]
	scratch_load_b64 v[127:128], off, off offset:112 th:TH_LOAD_LU ; 8-byte Folded Reload
	s_wait_loadcnt 0x0
	v_add_f64_e32 v[122:123], v[122:123], v[127:128]
	scratch_load_b64 v[127:128], off, off offset:104 th:TH_LOAD_LU ; 8-byte Folded Reload
	s_wait_loadcnt 0x0
	v_add_f64_e32 v[125:126], v[125:126], v[127:128]
	scratch_load_b64 v[127:128], off, off offset:128 th:TH_LOAD_LU ; 8-byte Folded Reload
	s_wait_loadcnt 0x0
	v_add_f64_e32 v[122:123], v[122:123], v[127:128]
	scratch_load_b64 v[127:128], off, off offset:120 th:TH_LOAD_LU ; 8-byte Folded Reload
	s_wait_loadcnt 0x0
	v_add_f64_e32 v[125:126], v[125:126], v[127:128]
	scratch_load_b64 v[127:128], off, off offset:168 th:TH_LOAD_LU ; 8-byte Folded Reload
	s_wait_loadcnt 0x0
	v_add_f64_e32 v[122:123], v[122:123], v[127:128]
	scratch_load_b64 v[127:128], off, off offset:152 th:TH_LOAD_LU ; 8-byte Folded Reload
	s_wait_loadcnt 0x0
	v_add_f64_e32 v[125:126], v[125:126], v[127:128]
	scratch_load_b64 v[127:128], off, off offset:176 th:TH_LOAD_LU ; 8-byte Folded Reload
	s_wait_loadcnt 0x0
	v_add_f64_e32 v[122:123], v[122:123], v[127:128]
	scratch_load_b64 v[127:128], off, off offset:160 th:TH_LOAD_LU ; 8-byte Folded Reload
	s_wait_loadcnt 0x0
	v_add_f64_e32 v[125:126], v[125:126], v[127:128]
	scratch_load_b64 v[127:128], off, off offset:136 th:TH_LOAD_LU ; 8-byte Folded Reload
	s_wait_loadcnt 0x0
	v_add_f64_e32 v[122:123], v[122:123], v[127:128]
	scratch_load_b64 v[127:128], off, off offset:144 th:TH_LOAD_LU ; 8-byte Folded Reload
	s_wait_loadcnt 0x0
	v_add_f64_e32 v[125:126], v[125:126], v[127:128]
	scratch_load_b64 v[127:128], off, off offset:24 th:TH_LOAD_LU ; 8-byte Folded Reload
	s_wait_loadcnt 0x0
	v_add_f64_e32 v[122:123], v[122:123], v[127:128]
	scratch_load_b64 v[127:128], off, off offset:32 th:TH_LOAD_LU ; 8-byte Folded Reload
	s_wait_loadcnt 0x0
	v_add_f64_e32 v[125:126], v[125:126], v[127:128]
	scratch_load_b64 v[127:128], off, off offset:8 th:TH_LOAD_LU ; 8-byte Folded Reload
	s_wait_loadcnt 0x0
	v_add_f64_e32 v[127:128], v[122:123], v[127:128]
	scratch_load_b64 v[122:123], off, off offset:16 th:TH_LOAD_LU ; 8-byte Folded Reload
	s_wait_loadcnt 0x0
	v_add_f64_e32 v[125:126], v[125:126], v[122:123]
	scratch_load_b32 v122, off, off offset:4 ; 4-byte Folded Reload
	s_wait_loadcnt 0x0
	v_lshl_add_u32 v122, v195, 4, v122
	ds_store_b128 v122, v[110:113] offset:192
	ds_store_b128 v122, v[114:117] offset:288
	;; [unrolled: 1-line block ×11, first 2 shown]
	ds_store_b128 v255, v[125:128]
	ds_store_b128 v122, v[72:75] offset:1152
.LBB0_5:
	s_wait_alu 0xfffe
	s_or_b32 exec_lo, exec_lo, s20
	s_add_nc_u64 s[2:3], s[8:9], 0x4e0
	global_wb scope:SCOPE_SE
	s_wait_storecnt 0x0
	s_wait_loadcnt_dscnt 0x0
	s_barrier_signal -1
	s_barrier_wait -1
	global_inv scope:SCOPE_SE
	s_clause 0x5
	global_load_b128 v[92:95], v[104:105], off offset:1248
	global_load_b128 v[104:107], v131, s[2:3] offset:208
	global_load_b128 v[108:111], v131, s[2:3] offset:416
	;; [unrolled: 1-line block ×5, first 2 shown]
	ds_load_b128 v[125:128], v255
	ds_load_b128 v[133:136], v255 offset:208
	ds_load_b128 v[137:140], v255 offset:416
	;; [unrolled: 1-line block ×5, first 2 shown]
	s_mov_b32 s2, 0xe8584caa
	s_mov_b32 s3, 0xbfebb67a
	;; [unrolled: 1-line block ×3, first 2 shown]
	s_wait_alu 0xfffe
	s_mov_b32 s8, s2
	s_wait_loadcnt_dscnt 0x505
	v_mul_f64_e32 v[129:130], v[127:128], v[94:95]
	v_mul_f64_e32 v[94:95], v[125:126], v[94:95]
	s_wait_loadcnt_dscnt 0x404
	v_mul_f64_e32 v[153:154], v[135:136], v[106:107]
	v_mul_f64_e32 v[106:107], v[133:134], v[106:107]
	;; [unrolled: 3-line block ×6, first 2 shown]
	v_fma_f64 v[125:126], v[125:126], v[92:93], -v[129:130]
	v_fma_f64 v[127:128], v[127:128], v[92:93], v[94:95]
	v_fma_f64 v[92:93], v[133:134], v[104:105], -v[153:154]
	v_fma_f64 v[94:95], v[135:136], v[104:105], v[106:107]
	;; [unrolled: 2-line block ×6, first 2 shown]
	ds_store_b128 v255, v[125:128]
	ds_store_b128 v255, v[92:95] offset:208
	ds_store_b128 v255, v[104:107] offset:416
	;; [unrolled: 1-line block ×5, first 2 shown]
	global_wb scope:SCOPE_SE
	s_wait_dscnt 0x0
	s_barrier_signal -1
	s_barrier_wait -1
	global_inv scope:SCOPE_SE
	ds_load_b128 v[92:95], v255 offset:624
	ds_load_b128 v[104:107], v255 offset:1040
	;; [unrolled: 1-line block ×3, first 2 shown]
	s_wait_dscnt 0x1
	v_add_f64_e32 v[112:113], v[94:95], v[106:107]
	v_add_f64_e32 v[120:121], v[92:93], v[104:105]
	v_add_f64_e64 v[122:123], v[92:93], -v[104:105]
	v_add_f64_e64 v[133:134], v[94:95], -v[106:107]
	s_wait_dscnt 0x0
	v_add_f64_e32 v[92:93], v[108:109], v[92:93]
	v_add_f64_e32 v[94:95], v[110:111], v[94:95]
	v_fma_f64 v[125:126], v[112:113], -0.5, v[110:111]
	ds_load_b128 v[112:115], v255 offset:416
	ds_load_b128 v[116:119], v255 offset:832
	v_fma_f64 v[135:136], v[120:121], -0.5, v[108:109]
	v_add_f64_e32 v[104:105], v[92:93], v[104:105]
	v_add_f64_e32 v[106:107], v[94:95], v[106:107]
	s_wait_dscnt 0x0
	v_add_f64_e32 v[127:128], v[112:113], v[116:117]
	v_add_f64_e32 v[129:130], v[114:115], v[118:119]
	v_add_f64_e64 v[141:142], v[114:115], -v[118:119]
	s_wait_alu 0xfffe
	v_fma_f64 v[137:138], v[122:123], s[8:9], v[125:126]
	v_fma_f64 v[125:126], v[122:123], s[2:3], v[125:126]
	ds_load_b128 v[120:123], v255
	global_wb scope:SCOPE_SE
	s_wait_dscnt 0x0
	s_barrier_signal -1
	s_barrier_wait -1
	global_inv scope:SCOPE_SE
	v_add_f64_e32 v[139:140], v[120:121], v[112:113]
	v_add_f64_e32 v[114:115], v[122:123], v[114:115]
	v_add_f64_e64 v[112:113], v[112:113], -v[116:117]
	v_fma_f64 v[108:109], v[127:128], -0.5, v[120:121]
	v_fma_f64 v[110:111], v[129:130], -0.5, v[122:123]
	v_fma_f64 v[120:121], v[133:134], s[2:3], v[135:136]
	v_fma_f64 v[122:123], v[133:134], s[8:9], v[135:136]
	v_mul_f64_e32 v[127:128], s[2:3], v[137:138]
	v_mul_f64_e32 v[129:130], s[2:3], v[125:126]
	v_mul_f64_e32 v[133:134], 0.5, v[137:138]
	v_mul_f64_e32 v[125:126], -0.5, v[125:126]
	v_add_f64_e32 v[116:117], v[139:140], v[116:117]
	v_add_f64_e32 v[114:115], v[114:115], v[118:119]
	v_fma_f64 v[118:119], v[141:142], s[2:3], v[108:109]
	v_fma_f64 v[135:136], v[141:142], s[8:9], v[108:109]
	;; [unrolled: 1-line block ×4, first 2 shown]
	v_fma_f64 v[127:128], v[120:121], 0.5, v[127:128]
	v_fma_f64 v[129:130], v[122:123], -0.5, v[129:130]
	v_fma_f64 v[133:134], v[120:121], s[8:9], v[133:134]
	v_fma_f64 v[122:123], v[122:123], s[8:9], v[125:126]
	v_add_f64_e32 v[92:93], v[116:117], v[104:105]
	v_add_f64_e32 v[94:95], v[114:115], v[106:107]
	v_add_f64_e64 v[108:109], v[116:117], -v[104:105]
	v_add_f64_e64 v[110:111], v[114:115], -v[106:107]
	v_add_f64_e32 v[112:113], v[118:119], v[127:128]
	v_add_f64_e32 v[104:105], v[135:136], v[129:130]
	;; [unrolled: 1-line block ×4, first 2 shown]
	v_add_f64_e64 v[116:117], v[118:119], -v[127:128]
	v_add_f64_e64 v[120:121], v[135:136], -v[129:130]
	;; [unrolled: 1-line block ×4, first 2 shown]
	ds_store_b128 v132, v[92:95]
	ds_store_b128 v132, v[112:115] offset:16
	ds_store_b128 v132, v[104:107] offset:32
	ds_store_b128 v132, v[108:111] offset:48
	ds_store_b128 v132, v[116:119] offset:64
	ds_store_b128 v132, v[120:123] offset:80
	global_wb scope:SCOPE_SE
	s_wait_dscnt 0x0
	s_barrier_signal -1
	s_barrier_wait -1
	global_inv scope:SCOPE_SE
	s_and_saveexec_b32 s2, vcc_lo
	s_cbranch_execz .LBB0_7
; %bb.6:
	ds_load_b128 v[92:95], v255
	ds_load_b128 v[112:115], v255 offset:96
	ds_load_b128 v[104:107], v255 offset:192
	;; [unrolled: 1-line block ×12, first 2 shown]
.LBB0_7:
	s_wait_alu 0xfffe
	s_or_b32 exec_lo, exec_lo, s2
	s_and_saveexec_b32 s33, vcc_lo
	s_cbranch_execz .LBB0_9
; %bb.8:
	s_wait_dscnt 0x6
	v_mul_f64_e32 v[125:126], v[62:63], v[98:99]
	v_mul_f64_e32 v[62:63], v[62:63], v[96:97]
	s_mov_b32 s35, 0x3fddbe06
	s_mov_b32 s34, 0x4267c47c
	;; [unrolled: 1-line block ×14, first 2 shown]
	s_wait_alu 0xfffe
	s_mov_b32 s30, s26
	s_mov_b32 s28, s24
	;; [unrolled: 1-line block ×16, first 2 shown]
	s_delay_alu instid0(VALU_DEP_2) | instskip(NEXT) | instid1(VALU_DEP_2)
	v_fma_f64 v[125:126], v[60:61], v[96:97], v[125:126]
	v_fma_f64 v[62:63], v[60:61], v[98:99], -v[62:63]
	s_wait_dscnt 0x5
	v_mul_f64_e32 v[60:61], v[66:67], v[102:103]
	v_mul_f64_e32 v[66:67], v[66:67], v[100:101]
	s_delay_alu instid0(VALU_DEP_2) | instskip(NEXT) | instid1(VALU_DEP_2)
	v_fma_f64 v[60:61], v[64:65], v[100:101], v[60:61]
	v_fma_f64 v[64:65], v[64:65], v[102:103], -v[66:67]
	v_mul_f64_e32 v[66:67], v[50:51], v[122:123]
	v_mul_f64_e32 v[50:51], v[50:51], v[120:121]
	s_delay_alu instid0(VALU_DEP_4) | instskip(NEXT) | instid1(VALU_DEP_4)
	v_add_f64_e32 v[195:196], v[125:126], v[60:61]
	v_add_f64_e32 v[191:192], v[62:63], v[64:65]
	s_delay_alu instid0(VALU_DEP_4) | instskip(NEXT) | instid1(VALU_DEP_4)
	v_fma_f64 v[66:67], v[48:49], v[120:121], v[66:67]
	v_fma_f64 v[48:49], v[48:49], v[122:123], -v[50:51]
	v_mul_f64_e32 v[50:51], v[26:27], v[114:115]
	v_mul_f64_e32 v[26:27], v[26:27], v[112:113]
	s_delay_alu instid0(VALU_DEP_2) | instskip(NEXT) | instid1(VALU_DEP_2)
	v_fma_f64 v[96:97], v[24:25], v[112:113], v[50:51]
	v_fma_f64 v[98:99], v[24:25], v[114:115], -v[26:27]
	s_wait_dscnt 0x4
	v_mul_f64_e32 v[24:25], v[58:59], v[90:91]
	v_mul_f64_e32 v[26:27], v[58:59], v[88:89]
	;; [unrolled: 1-line block ×6, first 2 shown]
	v_add_f64_e32 v[167:168], v[92:93], v[96:97]
	v_fma_f64 v[24:25], v[56:57], v[88:89], v[24:25]
	v_fma_f64 v[26:27], v[56:57], v[90:91], -v[26:27]
	v_fma_f64 v[50:51], v[44:45], v[116:117], v[50:51]
	v_fma_f64 v[56:57], v[44:45], v[118:119], -v[46:47]
	s_wait_dscnt 0x3
	v_mul_f64_e32 v[44:45], v[70:71], v[86:87]
	v_mul_f64_e32 v[46:47], v[70:71], v[84:85]
	v_fma_f64 v[58:59], v[40:41], v[108:109], v[58:59]
	v_add_f64_e64 v[70:71], v[66:67], -v[24:25]
	s_delay_alu instid0(VALU_DEP_4) | instskip(NEXT) | instid1(VALU_DEP_4)
	v_fma_f64 v[44:45], v[68:69], v[84:85], v[44:45]
	v_fma_f64 v[46:47], v[68:69], v[86:87], -v[46:47]
	v_fma_f64 v[68:69], v[40:41], v[110:111], -v[42:43]
	s_wait_dscnt 0x2
	v_mul_f64_e32 v[40:41], v[54:55], v[82:83]
	v_mul_f64_e32 v[42:43], v[54:55], v[80:81]
	;; [unrolled: 1-line block ×5, first 2 shown]
	s_wait_alu 0xfffe
	v_mul_f64_e32 v[215:216], s[30:31], v[70:71]
	v_add_f64_e32 v[179:180], v[50:51], v[44:45]
	v_add_f64_e32 v[177:178], v[56:57], v[46:47]
	v_fma_f64 v[40:41], v[52:53], v[80:81], v[40:41]
	v_fma_f64 v[42:43], v[52:53], v[82:83], -v[42:43]
	v_mul_f64_e32 v[52:53], v[34:35], v[106:107]
	v_mul_f64_e32 v[34:35], v[34:35], v[104:105]
	s_delay_alu instid0(VALU_DEP_4) | instskip(NEXT) | instid1(VALU_DEP_4)
	v_add_f64_e64 v[80:81], v[58:59], -v[40:41]
	v_add_f64_e32 v[173:174], v[68:69], v[42:43]
	s_delay_alu instid0(VALU_DEP_4) | instskip(NEXT) | instid1(VALU_DEP_4)
	v_fma_f64 v[52:53], v[32:33], v[104:105], v[52:53]
	v_fma_f64 v[54:55], v[32:33], v[106:107], -v[34:35]
	s_wait_dscnt 0x1
	v_mul_f64_e32 v[32:33], v[38:39], v[78:79]
	v_mul_f64_e32 v[34:35], v[38:39], v[76:77]
	v_add_f64_e64 v[38:39], v[125:126], -v[60:61]
	v_add_f64_e32 v[175:176], v[58:59], v[40:41]
	v_mul_f64_e32 v[102:103], s[34:35], v[80:81]
	v_fma_f64 v[32:33], v[36:37], v[76:77], v[32:33]
	v_fma_f64 v[36:37], v[36:37], v[78:79], -v[34:35]
	s_wait_dscnt 0x0
	v_mul_f64_e32 v[34:35], v[30:31], v[74:75]
	v_mul_f64_e32 v[30:31], v[30:31], v[72:73]
	v_add_f64_e64 v[78:79], v[68:69], -v[42:43]
	v_add_f64_e64 v[76:77], v[50:51], -v[44:45]
	v_mul_f64_e32 v[86:87], s[34:35], v[38:39]
	v_mul_f64_e32 v[193:194], s[24:25], v[38:39]
	v_mul_f64_e32 v[219:220], s[16:17], v[38:39]
	v_add_f64_e64 v[84:85], v[52:53], -v[32:33]
	v_add_f64_e64 v[82:83], v[54:55], -v[36:37]
	v_fma_f64 v[34:35], v[28:29], v[72:73], v[34:35]
	v_fma_f64 v[28:29], v[28:29], v[74:75], -v[30:31]
	v_add_f64_e64 v[30:31], v[48:49], -v[26:27]
	v_add_f64_e64 v[74:75], v[56:57], -v[46:47]
	;; [unrolled: 1-line block ×3, first 2 shown]
	v_mul_f64_e32 v[104:105], s[34:35], v[78:79]
	v_mul_f64_e32 v[90:91], s[34:35], v[76:77]
	v_add_f64_e32 v[169:170], v[54:55], v[36:37]
	v_add_f64_e32 v[171:172], v[52:53], v[32:33]
	v_mul_f64_e32 v[199:200], s[18:19], v[78:79]
	v_mul_f64_e32 v[201:202], s[36:37], v[76:77]
	v_add_f64_e32 v[52:53], v[167:168], v[52:53]
	v_mul_f64_e32 v[106:107], s[34:35], v[84:85]
	v_mul_f64_e32 v[108:109], s[34:35], v[82:83]
	v_add_f64_e64 v[114:115], v[96:97], -v[34:35]
	v_add_f64_e32 v[129:130], v[98:99], v[28:29]
	v_mul_f64_e32 v[112:113], s[34:35], v[30:31]
	v_mul_f64_e32 v[100:101], s[34:35], v[74:75]
	;; [unrolled: 1-line block ×3, first 2 shown]
	s_mov_b32 s35, 0xbfddbe06
	v_add_f64_e32 v[153:154], v[96:97], v[34:35]
	v_mul_f64_e32 v[187:188], s[20:21], v[30:31]
	v_mul_f64_e32 v[197:198], s[24:25], v[72:73]
	;; [unrolled: 1-line block ×7, first 2 shown]
	v_add_f64_e32 v[52:53], v[52:53], v[58:59]
	v_mul_f64_e32 v[116:117], s[18:19], v[114:115]
	v_mul_f64_e32 v[118:119], s[16:17], v[114:115]
	;; [unrolled: 1-line block ×5, first 2 shown]
	s_wait_alu 0xfffe
	v_mul_f64_e32 v[114:115], s[34:35], v[114:115]
	v_add_f64_e32 v[50:51], v[52:53], v[50:51]
	v_fma_f64 v[131:132], v[129:130], s[14:15], v[116:117]
	v_fma_f64 v[116:117], v[129:130], s[14:15], -v[116:117]
	v_fma_f64 v[133:134], v[129:130], s[8:9], v[118:119]
	v_fma_f64 v[118:119], v[129:130], s[8:9], -v[118:119]
	;; [unrolled: 2-line block ×6, first 2 shown]
	v_add_f64_e64 v[129:130], v[98:99], -v[28:29]
	v_add_f64_e32 v[50:51], v[50:51], v[66:67]
	v_add_f64_e32 v[96:97], v[94:95], v[131:132]
	;; [unrolled: 1-line block ×10, first 2 shown]
	v_mul_f64_e32 v[143:144], s[18:19], v[129:130]
	v_mul_f64_e32 v[145:146], s[16:17], v[129:130]
	;; [unrolled: 1-line block ×6, first 2 shown]
	s_mov_b32 s35, 0x3fcea1e5
	s_mov_b32 s34, s18
	v_add_f64_e32 v[50:51], v[50:51], v[125:126]
	v_fma_f64 v[155:156], v[153:154], s[14:15], -v[143:144]
	v_fma_f64 v[143:144], v[153:154], s[14:15], v[143:144]
	v_fma_f64 v[157:158], v[153:154], s[8:9], -v[145:146]
	v_fma_f64 v[145:146], v[153:154], s[8:9], v[145:146]
	v_fma_f64 v[159:160], v[153:154], s[2:3], -v[147:148]
	v_fma_f64 v[147:148], v[153:154], s[2:3], v[147:148]
	v_fma_f64 v[161:162], v[153:154], s[10:11], -v[149:150]
	v_fma_f64 v[149:150], v[153:154], s[10:11], v[149:150]
	v_fma_f64 v[163:164], v[153:154], s[12:13], -v[151:152]
	v_fma_f64 v[151:152], v[153:154], s[12:13], v[151:152]
	v_fma_f64 v[165:166], v[153:154], s[22:23], v[129:130]
	v_fma_f64 v[129:130], v[153:154], s[22:23], -v[129:130]
	v_add_f64_e32 v[153:154], v[94:95], v[98:99]
	v_add_f64_e32 v[50:51], v[50:51], v[60:61]
	;; [unrolled: 1-line block ×16, first 2 shown]
	v_fma_f64 v[92:93], v[169:170], s[22:23], v[106:107]
	v_add_f64_e32 v[151:152], v[94:95], v[114:115]
	v_fma_f64 v[94:95], v[171:172], s[22:23], -v[108:109]
	v_fma_f64 v[106:107], v[169:170], s[22:23], -v[106:107]
	v_fma_f64 v[108:109], v[171:172], s[22:23], v[108:109]
	v_add_f64_e32 v[54:55], v[153:154], v[54:55]
	v_add_f64_e32 v[92:93], v[92:93], v[96:97]
	v_mul_f64_e32 v[96:97], s[16:17], v[80:81]
	v_add_f64_e32 v[94:95], v[94:95], v[98:99]
	v_add_f64_e32 v[106:107], v[106:107], v[116:117]
	;; [unrolled: 1-line block ×3, first 2 shown]
	v_mul_f64_e32 v[116:117], s[24:25], v[82:83]
	v_add_f64_e32 v[54:55], v[54:55], v[68:69]
	v_fma_f64 v[98:99], v[173:174], s[8:9], v[96:97]
	v_fma_f64 v[96:97], v[173:174], s[8:9], -v[96:97]
	s_delay_alu instid0(VALU_DEP_3) | instskip(NEXT) | instid1(VALU_DEP_3)
	v_add_f64_e32 v[54:55], v[54:55], v[56:57]
	v_add_f64_e32 v[92:93], v[98:99], v[92:93]
	v_mul_f64_e32 v[98:99], s[16:17], v[78:79]
	s_delay_alu instid0(VALU_DEP_4) | instskip(NEXT) | instid1(VALU_DEP_2)
	v_add_f64_e32 v[96:97], v[96:97], v[106:107]
	v_fma_f64 v[114:115], v[175:176], s[8:9], -v[98:99]
	v_fma_f64 v[98:99], v[175:176], s[8:9], v[98:99]
	s_delay_alu instid0(VALU_DEP_2) | instskip(SKIP_1) | instid1(VALU_DEP_3)
	v_add_f64_e32 v[94:95], v[114:115], v[94:95]
	v_mul_f64_e32 v[114:115], s[26:27], v[76:77]
	v_add_f64_e32 v[98:99], v[98:99], v[108:109]
	v_fma_f64 v[108:109], v[195:196], s[10:11], v[197:198]
	s_delay_alu instid0(VALU_DEP_3)
	v_fma_f64 v[129:130], v[177:178], s[12:13], v[114:115]
	v_fma_f64 v[106:107], v[177:178], s[12:13], -v[114:115]
	v_mul_f64_e32 v[114:115], s[24:25], v[84:85]
	s_mov_b32 s25, 0x3fedeba7
	s_mov_b32 s24, s20
	s_wait_alu 0xfffe
	v_mul_f64_e32 v[213:214], s[24:25], v[78:79]
	s_delay_alu instid0(VALU_DEP_4) | instskip(SKIP_2) | instid1(VALU_DEP_2)
	v_add_f64_e32 v[92:93], v[129:130], v[92:93]
	v_mul_f64_e32 v[129:130], s[26:27], v[74:75]
	v_add_f64_e32 v[96:97], v[106:107], v[96:97]
	v_fma_f64 v[181:182], v[179:180], s[12:13], -v[129:130]
	v_fma_f64 v[106:107], v[179:180], s[12:13], v[129:130]
	v_mul_f64_e32 v[129:130], s[30:31], v[80:81]
	s_delay_alu instid0(VALU_DEP_3) | instskip(SKIP_1) | instid1(VALU_DEP_4)
	v_add_f64_e32 v[94:95], v[181:182], v[94:95]
	v_add_f64_e32 v[181:182], v[48:49], v[26:27]
	;; [unrolled: 1-line block ×3, first 2 shown]
	s_delay_alu instid0(VALU_DEP_4) | instskip(SKIP_1) | instid1(VALU_DEP_4)
	v_fma_f64 v[131:132], v[173:174], s[12:13], v[129:130]
	v_add_f64_e32 v[48:49], v[54:55], v[48:49]
	v_fma_f64 v[185:186], v[181:182], s[2:3], v[183:184]
	v_fma_f64 v[106:107], v[181:182], s[2:3], -v[183:184]
	s_delay_alu instid0(VALU_DEP_3) | instskip(NEXT) | instid1(VALU_DEP_3)
	v_add_f64_e32 v[48:49], v[48:49], v[62:63]
	v_add_f64_e32 v[92:93], v[185:186], v[92:93]
	;; [unrolled: 1-line block ×3, first 2 shown]
	s_delay_alu instid0(VALU_DEP_4) | instskip(NEXT) | instid1(VALU_DEP_4)
	v_add_f64_e32 v[96:97], v[106:107], v[96:97]
	v_add_f64_e32 v[48:49], v[48:49], v[64:65]
	;; [unrolled: 1-line block ×3, first 2 shown]
	s_delay_alu instid0(VALU_DEP_4)
	v_fma_f64 v[106:107], v[185:186], s[2:3], v[187:188]
	v_fma_f64 v[189:190], v[185:186], s[2:3], -v[187:188]
	v_mul_f64_e32 v[187:188], s[20:21], v[38:39]
	v_add_f64_e32 v[26:27], v[48:49], v[26:27]
	v_add_f64_e32 v[24:25], v[24:25], v[44:45]
	;; [unrolled: 1-line block ×3, first 2 shown]
	v_fma_f64 v[98:99], v[191:192], s[10:11], -v[193:194]
	v_add_f64_e32 v[189:190], v[189:190], v[94:95]
	v_fma_f64 v[94:95], v[191:192], s[10:11], v[193:194]
	v_mul_f64_e32 v[193:194], s[20:21], v[82:83]
	v_add_f64_e32 v[26:27], v[26:27], v[46:47]
	v_add_f64_e32 v[24:25], v[24:25], v[40:41]
	;; [unrolled: 1-line block ×4, first 2 shown]
	v_fma_f64 v[106:107], v[169:170], s[10:11], v[114:115]
	v_fma_f64 v[108:109], v[171:172], s[10:11], -v[116:117]
	v_fma_f64 v[114:115], v[169:170], s[10:11], -v[114:115]
	v_fma_f64 v[116:117], v[171:172], s[10:11], v[116:117]
	v_add_f64_e32 v[94:95], v[94:95], v[92:93]
	v_fma_f64 v[92:93], v[195:196], s[10:11], -v[197:198]
	v_mul_f64_e32 v[197:198], s[18:19], v[80:81]
	v_add_f64_e32 v[26:27], v[26:27], v[42:43]
	v_add_f64_e32 v[24:25], v[24:25], v[32:33]
	;; [unrolled: 1-line block ×5, first 2 shown]
	v_fma_f64 v[118:119], v[173:174], s[12:13], -v[129:130]
	v_add_f64_e32 v[116:117], v[116:117], v[145:146]
	v_add_f64_e32 v[92:93], v[92:93], v[189:190]
	v_mul_f64_e32 v[189:190], s[20:21], v[72:73]
	v_mul_f64_e32 v[145:146], s[34:35], v[70:71]
	v_add_f64_e32 v[26:27], v[26:27], v[36:37]
	v_add_f64_e32 v[24:25], v[24:25], v[34:35]
	;; [unrolled: 1-line block ×3, first 2 shown]
	v_mul_f64_e32 v[131:132], s[30:31], v[78:79]
	v_mul_f64_e32 v[78:79], s[28:29], v[78:79]
	v_add_f64_e32 v[114:115], v[118:119], v[114:115]
	v_add_f64_e32 v[26:27], v[26:27], v[28:29]
	s_delay_alu instid0(VALU_DEP_4) | instskip(SKIP_3) | instid1(VALU_DEP_4)
	v_fma_f64 v[133:134], v[175:176], s[12:13], -v[131:132]
	v_fma_f64 v[118:119], v[175:176], s[12:13], v[131:132]
	v_mul_f64_e32 v[131:132], s[36:37], v[84:85]
	v_fma_f64 v[36:37], v[175:176], s[10:11], -v[78:79]
	v_add_f64_e32 v[108:109], v[133:134], v[108:109]
	v_mul_f64_e32 v[133:134], s[34:35], v[76:77]
	v_add_f64_e32 v[116:117], v[118:119], v[116:117]
	s_delay_alu instid0(VALU_DEP_2) | instskip(SKIP_3) | instid1(VALU_DEP_4)
	v_fma_f64 v[143:144], v[177:178], s[14:15], v[133:134]
	v_fma_f64 v[118:119], v[177:178], s[14:15], -v[133:134]
	v_mul_f64_e32 v[133:134], s[36:37], v[82:83]
	v_mul_f64_e32 v[82:83], s[30:31], v[82:83]
	v_add_f64_e32 v[106:107], v[143:144], v[106:107]
	v_mul_f64_e32 v[143:144], s[34:35], v[74:75]
	v_add_f64_e32 v[114:115], v[118:119], v[114:115]
	s_delay_alu instid0(VALU_DEP_4) | instskip(NEXT) | instid1(VALU_DEP_3)
	v_fma_f64 v[32:33], v[171:172], s[12:13], -v[82:83]
	v_fma_f64 v[183:184], v[179:180], s[14:15], -v[143:144]
	v_fma_f64 v[118:119], v[179:180], s[14:15], v[143:144]
	v_mul_f64_e32 v[143:144], s[28:29], v[74:75]
	v_mul_f64_e32 v[74:75], s[20:21], v[74:75]
	v_add_f64_e32 v[32:33], v[32:33], v[165:166]
	v_add_f64_e32 v[108:109], v[183:184], v[108:109]
	v_fma_f64 v[183:184], v[181:182], s[22:23], v[110:111]
	v_add_f64_e32 v[116:117], v[118:119], v[116:117]
	v_fma_f64 v[110:111], v[181:182], s[22:23], -v[110:111]
	v_fma_f64 v[118:119], v[173:174], s[22:23], v[102:103]
	v_fma_f64 v[102:103], v[173:174], s[22:23], -v[102:103]
	v_fma_f64 v[42:43], v[179:180], s[2:3], -v[74:75]
	v_add_f64_e32 v[32:33], v[36:37], v[32:33]
	v_add_f64_e32 v[106:107], v[183:184], v[106:107]
	v_fma_f64 v[183:184], v[185:186], s[22:23], -v[112:113]
	v_fma_f64 v[112:113], v[185:186], s[22:23], v[112:113]
	v_add_f64_e32 v[110:111], v[110:111], v[114:115]
	v_add_f64_e32 v[32:33], v[42:43], v[32:33]
	s_delay_alu instid0(VALU_DEP_4) | instskip(NEXT) | instid1(VALU_DEP_4)
	v_add_f64_e32 v[183:184], v[183:184], v[108:109]
	v_add_f64_e32 v[114:115], v[112:113], v[116:117]
	v_fma_f64 v[112:113], v[191:192], s[2:3], -v[187:188]
	v_fma_f64 v[116:117], v[195:196], s[2:3], v[189:190]
	v_fma_f64 v[108:109], v[191:192], s[2:3], v[187:188]
	v_mul_f64_e32 v[187:188], s[26:27], v[72:73]
	s_delay_alu instid0(VALU_DEP_4) | instskip(NEXT) | instid1(VALU_DEP_4)
	v_add_f64_e32 v[112:113], v[112:113], v[110:111]
	v_add_f64_e32 v[110:111], v[116:117], v[114:115]
	v_fma_f64 v[114:115], v[169:170], s[8:9], v[131:132]
	v_fma_f64 v[116:117], v[171:172], s[8:9], -v[133:134]
	v_add_f64_e32 v[108:109], v[108:109], v[106:107]
	v_fma_f64 v[106:107], v[195:196], s[2:3], -v[189:190]
	v_mul_f64_e32 v[189:190], s[20:21], v[84:85]
	v_fma_f64 v[131:132], v[169:170], s[8:9], -v[131:132]
	v_fma_f64 v[133:134], v[171:172], s[8:9], v[133:134]
	v_mul_f64_e32 v[84:85], s[30:31], v[84:85]
	v_add_f64_e32 v[114:115], v[114:115], v[135:136]
	v_add_f64_e32 v[116:117], v[116:117], v[155:156]
	v_mul_f64_e32 v[135:136], s[28:29], v[76:77]
	v_mul_f64_e32 v[155:156], s[34:35], v[30:31]
	v_add_f64_e32 v[106:107], v[106:107], v[183:184]
	v_mul_f64_e32 v[183:184], s[26:27], v[38:39]
	v_add_f64_e32 v[131:132], v[131:132], v[157:158]
	v_add_f64_e32 v[133:134], v[133:134], v[147:148]
	v_mul_f64_e32 v[76:77], s[20:21], v[76:77]
	v_fma_f64 v[28:29], v[169:170], s[12:13], v[84:85]
	v_mul_f64_e32 v[30:31], s[16:17], v[30:31]
	v_mul_f64_e32 v[38:39], s[18:19], v[38:39]
	v_add_f64_e32 v[114:115], v[118:119], v[114:115]
	v_fma_f64 v[118:119], v[175:176], s[22:23], -v[104:105]
	v_fma_f64 v[104:105], v[175:176], s[22:23], v[104:105]
	v_add_f64_e32 v[102:103], v[102:103], v[131:132]
	v_fma_f64 v[131:132], v[177:178], s[10:11], -v[135:136]
	v_fma_f64 v[40:41], v[177:178], s[2:3], v[76:77]
	v_add_f64_e32 v[28:29], v[28:29], v[141:142]
	v_fma_f64 v[36:37], v[191:192], s[14:15], v[38:39]
	v_add_f64_e32 v[116:117], v[118:119], v[116:117]
	;; [unrolled: 2-line block ×5, first 2 shown]
	v_fma_f64 v[118:119], v[179:180], s[10:11], -v[143:144]
	s_delay_alu instid0(VALU_DEP_3) | instskip(SKIP_1) | instid1(VALU_DEP_3)
	v_add_f64_e32 v[104:105], v[131:132], v[104:105]
	v_fma_f64 v[131:132], v[181:182], s[14:15], -v[145:146]
	v_add_f64_e32 v[116:117], v[118:119], v[116:117]
	v_fma_f64 v[118:119], v[181:182], s[14:15], v[145:146]
	s_delay_alu instid0(VALU_DEP_3) | instskip(SKIP_1) | instid1(VALU_DEP_3)
	v_add_f64_e32 v[102:103], v[131:132], v[102:103]
	v_fma_f64 v[131:132], v[185:186], s[14:15], v[155:156]
	v_add_f64_e32 v[114:115], v[118:119], v[114:115]
	v_fma_f64 v[118:119], v[185:186], s[14:15], -v[155:156]
	s_delay_alu instid0(VALU_DEP_3) | instskip(SKIP_1) | instid1(VALU_DEP_3)
	v_add_f64_e32 v[131:132], v[131:132], v[104:105]
	v_fma_f64 v[104:105], v[191:192], s[12:13], -v[183:184]
	v_add_f64_e32 v[118:119], v[118:119], v[116:117]
	v_fma_f64 v[116:117], v[191:192], s[12:13], v[183:184]
	s_delay_alu instid0(VALU_DEP_3)
	v_add_f64_e32 v[104:105], v[104:105], v[102:103]
	v_add_f64_e32 v[102:103], v[133:134], v[131:132]
	v_fma_f64 v[131:132], v[169:170], s[14:15], v[209:210]
	v_fma_f64 v[133:134], v[171:172], s[14:15], -v[211:212]
	v_add_f64_e32 v[116:117], v[116:117], v[114:115]
	v_fma_f64 v[114:115], v[195:196], s[12:13], -v[187:188]
	s_delay_alu instid0(VALU_DEP_4) | instskip(NEXT) | instid1(VALU_DEP_4)
	v_add_f64_e32 v[131:132], v[131:132], v[137:138]
	v_add_f64_e32 v[133:134], v[133:134], v[159:160]
	s_delay_alu instid0(VALU_DEP_3) | instskip(SKIP_1) | instid1(VALU_DEP_1)
	v_add_f64_e32 v[114:115], v[114:115], v[118:119]
	v_fma_f64 v[118:119], v[169:170], s[2:3], -v[189:190]
	v_add_f64_e32 v[118:119], v[118:119], v[120:121]
	v_fma_f64 v[120:121], v[171:172], s[2:3], v[193:194]
	s_delay_alu instid0(VALU_DEP_1) | instskip(SKIP_1) | instid1(VALU_DEP_1)
	v_add_f64_e32 v[120:121], v[120:121], v[127:128]
	v_fma_f64 v[127:128], v[173:174], s[14:15], -v[197:198]
	v_add_f64_e32 v[118:119], v[127:128], v[118:119]
	v_fma_f64 v[127:128], v[175:176], s[14:15], v[199:200]
	s_delay_alu instid0(VALU_DEP_1) | instskip(SKIP_1) | instid1(VALU_DEP_1)
	;; [unrolled: 5-line block ×3, first 2 shown]
	v_add_f64_e32 v[120:121], v[127:128], v[120:121]
	v_fma_f64 v[127:128], v[181:182], s[10:11], -v[205:206]
	v_add_f64_e32 v[118:119], v[127:128], v[118:119]
	v_fma_f64 v[127:128], v[185:186], s[10:11], v[207:208]
	s_delay_alu instid0(VALU_DEP_1) | instskip(SKIP_2) | instid1(VALU_DEP_2)
	v_add_f64_e32 v[127:128], v[127:128], v[120:121]
	v_fma_f64 v[120:121], v[191:192], s[22:23], -v[86:87]
	v_fma_f64 v[86:87], v[191:192], s[22:23], v[86:87]
	v_add_f64_e32 v[120:121], v[120:121], v[118:119]
	v_fma_f64 v[118:119], v[195:196], s[22:23], v[88:89]
	s_delay_alu instid0(VALU_DEP_1) | instskip(SKIP_1) | instid1(VALU_DEP_1)
	v_add_f64_e32 v[118:119], v[118:119], v[127:128]
	v_fma_f64 v[127:128], v[169:170], s[14:15], -v[209:210]
	v_add_f64_e32 v[122:123], v[127:128], v[122:123]
	v_fma_f64 v[127:128], v[171:172], s[14:15], v[211:212]
	s_delay_alu instid0(VALU_DEP_1) | instskip(SKIP_2) | instid1(VALU_DEP_2)
	v_add_f64_e32 v[127:128], v[127:128], v[149:150]
	v_mul_f64_e32 v[149:150], s[24:25], v[80:81]
	v_mul_f64_e32 v[80:81], s[28:29], v[80:81]
	v_fma_f64 v[129:130], v[173:174], s[2:3], -v[149:150]
	v_fma_f64 v[135:136], v[173:174], s[2:3], v[149:150]
	s_delay_alu instid0(VALU_DEP_3) | instskip(NEXT) | instid1(VALU_DEP_3)
	v_fma_f64 v[34:35], v[173:174], s[10:11], v[80:81]
	v_add_f64_e32 v[122:123], v[129:130], v[122:123]
	v_fma_f64 v[129:130], v[175:176], s[2:3], v[213:214]
	s_delay_alu instid0(VALU_DEP_4) | instskip(SKIP_2) | instid1(VALU_DEP_4)
	v_add_f64_e32 v[131:132], v[135:136], v[131:132]
	v_fma_f64 v[135:136], v[175:176], s[2:3], -v[213:214]
	v_add_f64_e32 v[28:29], v[34:35], v[28:29]
	v_add_f64_e32 v[127:128], v[129:130], v[127:128]
	v_fma_f64 v[129:130], v[177:178], s[22:23], -v[90:91]
	v_fma_f64 v[90:91], v[177:178], s[22:23], v[90:91]
	v_add_f64_e32 v[133:134], v[135:136], v[133:134]
	v_add_f64_e32 v[28:29], v[40:41], v[28:29]
	s_delay_alu instid0(VALU_DEP_4) | instskip(SKIP_4) | instid1(VALU_DEP_4)
	v_add_f64_e32 v[122:123], v[129:130], v[122:123]
	v_fma_f64 v[129:130], v[179:180], s[22:23], v[100:101]
	v_add_f64_e32 v[90:91], v[90:91], v[131:132]
	v_fma_f64 v[100:101], v[179:180], s[22:23], -v[100:101]
	v_fma_f64 v[131:132], v[181:182], s[12:13], v[215:216]
	v_add_f64_e32 v[127:128], v[129:130], v[127:128]
	v_fma_f64 v[129:130], v[181:182], s[12:13], -v[215:216]
	s_delay_alu instid0(VALU_DEP_4) | instskip(NEXT) | instid1(VALU_DEP_4)
	v_add_f64_e32 v[100:101], v[100:101], v[133:134]
	v_add_f64_e32 v[90:91], v[131:132], v[90:91]
	v_fma_f64 v[131:132], v[185:186], s[12:13], -v[217:218]
	s_delay_alu instid0(VALU_DEP_4) | instskip(SKIP_1) | instid1(VALU_DEP_3)
	v_add_f64_e32 v[122:123], v[129:130], v[122:123]
	v_fma_f64 v[129:130], v[185:186], s[12:13], v[217:218]
	v_add_f64_e32 v[100:101], v[131:132], v[100:101]
	v_fma_f64 v[131:132], v[191:192], s[8:9], v[219:220]
	s_delay_alu instid0(VALU_DEP_3) | instskip(SKIP_1) | instid1(VALU_DEP_3)
	v_add_f64_e32 v[127:128], v[129:130], v[127:128]
	v_fma_f64 v[129:130], v[191:192], s[8:9], -v[219:220]
	v_add_f64_e32 v[133:134], v[131:132], v[90:91]
	v_fma_f64 v[90:91], v[169:170], s[2:3], v[189:190]
	s_delay_alu instid0(VALU_DEP_3) | instskip(SKIP_1) | instid1(VALU_DEP_3)
	v_add_f64_e32 v[129:130], v[129:130], v[122:123]
	v_mul_f64_e32 v[122:123], s[16:17], v[72:73]
	v_add_f64_e32 v[90:91], v[90:91], v[139:140]
	s_delay_alu instid0(VALU_DEP_2) | instskip(SKIP_1) | instid1(VALU_DEP_2)
	v_fma_f64 v[221:222], v[195:196], s[8:9], v[122:123]
	v_fma_f64 v[122:123], v[195:196], s[8:9], -v[122:123]
	v_add_f64_e32 v[127:128], v[221:222], v[127:128]
	s_delay_alu instid0(VALU_DEP_2) | instskip(SKIP_2) | instid1(VALU_DEP_2)
	v_add_f64_e32 v[131:132], v[122:123], v[100:101]
	v_fma_f64 v[100:101], v[171:172], s[2:3], -v[193:194]
	v_fma_f64 v[122:123], v[173:174], s[14:15], v[197:198]
	v_add_f64_e32 v[100:101], v[100:101], v[161:162]
	s_delay_alu instid0(VALU_DEP_2) | instskip(SKIP_1) | instid1(VALU_DEP_1)
	v_add_f64_e32 v[90:91], v[122:123], v[90:91]
	v_fma_f64 v[122:123], v[175:176], s[14:15], -v[199:200]
	v_add_f64_e32 v[100:101], v[122:123], v[100:101]
	v_fma_f64 v[122:123], v[177:178], s[8:9], v[201:202]
	s_delay_alu instid0(VALU_DEP_1) | instskip(SKIP_1) | instid1(VALU_DEP_1)
	v_add_f64_e32 v[90:91], v[122:123], v[90:91]
	v_fma_f64 v[122:123], v[179:180], s[8:9], -v[203:204]
	v_add_f64_e32 v[100:101], v[122:123], v[100:101]
	v_fma_f64 v[122:123], v[181:182], s[10:11], v[205:206]
	s_delay_alu instid0(VALU_DEP_1) | instskip(SKIP_1) | instid1(VALU_DEP_1)
	v_add_f64_e32 v[90:91], v[122:123], v[90:91]
	v_fma_f64 v[122:123], v[185:186], s[10:11], -v[207:208]
	v_add_f64_e32 v[100:101], v[122:123], v[100:101]
	v_fma_f64 v[122:123], v[195:196], s[22:23], -v[88:89]
	s_delay_alu instid0(VALU_DEP_4) | instskip(SKIP_1) | instid1(VALU_DEP_3)
	v_add_f64_e32 v[88:89], v[86:87], v[90:91]
	v_fma_f64 v[90:91], v[169:170], s[12:13], -v[84:85]
	v_add_f64_e32 v[86:87], v[122:123], v[100:101]
	v_fma_f64 v[100:101], v[171:172], s[12:13], v[82:83]
	s_delay_alu instid0(VALU_DEP_3) | instskip(SKIP_1) | instid1(VALU_DEP_3)
	v_add_f64_e32 v[90:91], v[90:91], v[151:152]
	v_fma_f64 v[122:123], v[173:174], s[10:11], -v[80:81]
	v_add_f64_e32 v[100:101], v[100:101], v[163:164]
	s_delay_alu instid0(VALU_DEP_2) | instskip(SKIP_1) | instid1(VALU_DEP_1)
	v_add_f64_e32 v[90:91], v[122:123], v[90:91]
	v_fma_f64 v[122:123], v[175:176], s[10:11], v[78:79]
	v_add_f64_e32 v[100:101], v[122:123], v[100:101]
	v_fma_f64 v[122:123], v[177:178], s[2:3], -v[76:77]
	s_delay_alu instid0(VALU_DEP_1) | instskip(SKIP_1) | instid1(VALU_DEP_1)
	v_add_f64_e32 v[90:91], v[122:123], v[90:91]
	v_fma_f64 v[122:123], v[179:180], s[2:3], v[74:75]
	v_add_f64_e32 v[100:101], v[122:123], v[100:101]
	v_mul_f64_e32 v[122:123], s[16:17], v[70:71]
	s_delay_alu instid0(VALU_DEP_1) | instskip(SKIP_1) | instid1(VALU_DEP_2)
	v_fma_f64 v[70:71], v[181:182], s[8:9], -v[122:123]
	v_fma_f64 v[34:35], v[181:182], s[8:9], v[122:123]
	v_add_f64_e32 v[70:71], v[70:71], v[90:91]
	v_fma_f64 v[90:91], v[185:186], s[8:9], v[30:31]
	v_fma_f64 v[30:31], v[185:186], s[8:9], -v[30:31]
	s_delay_alu instid0(VALU_DEP_4) | instskip(NEXT) | instid1(VALU_DEP_3)
	v_add_f64_e32 v[28:29], v[34:35], v[28:29]
	v_add_f64_e32 v[90:91], v[90:91], v[100:101]
	v_mul_f64_e32 v[100:101], s[18:19], v[72:73]
	v_fma_f64 v[72:73], v[191:192], s[14:15], -v[38:39]
	v_add_f64_e32 v[32:33], v[30:31], v[32:33]
	v_add_f64_e32 v[30:31], v[36:37], v[28:29]
	s_delay_alu instid0(VALU_DEP_4) | instskip(NEXT) | instid1(VALU_DEP_4)
	v_fma_f64 v[38:39], v[195:196], s[14:15], -v[100:101]
	v_add_f64_e32 v[72:73], v[72:73], v[70:71]
	v_fma_f64 v[70:71], v[195:196], s[14:15], v[100:101]
	scratch_load_b32 v195, off, off         ; 4-byte Folded Reload
	v_add_f64_e32 v[28:29], v[38:39], v[32:33]
	scratch_load_b32 v32, off, off offset:4 th:TH_LOAD_LU ; 4-byte Folded Reload
	v_add_f64_e32 v[70:71], v[70:71], v[90:91]
	s_wait_loadcnt 0x0
	v_lshl_add_u32 v32, v195, 4, v32
	ds_store_b128 v32, v[118:121] offset:192
	ds_store_b128 v32, v[127:130] offset:288
	;; [unrolled: 1-line block ×11, first 2 shown]
	ds_store_b128 v255, v[24:27]
	ds_store_b128 v32, v[28:31] offset:1152
.LBB0_9:
	s_or_b32 exec_lo, exec_lo, s33
	global_wb scope:SCOPE_SE
	s_wait_dscnt 0x0
	s_barrier_signal -1
	s_barrier_wait -1
	global_inv scope:SCOPE_SE
	ds_load_b128 v[24:27], v255
	ds_load_b128 v[28:31], v255 offset:208
	ds_load_b128 v[32:35], v255 offset:416
	;; [unrolled: 1-line block ×5, first 2 shown]
	v_mad_co_u64_u32 v[60:61], null, s6, v124, 0
	s_mov_b32 s2, 0x1a41a41a
	s_mov_b32 s3, 0x3f8a41a4
	s_wait_dscnt 0x5
	v_mul_f64_e32 v[48:49], v[2:3], v[26:27]
	v_mul_f64_e32 v[2:3], v[2:3], v[24:25]
	s_wait_dscnt 0x4
	v_mul_f64_e32 v[50:51], v[6:7], v[30:31]
	v_mul_f64_e32 v[6:7], v[6:7], v[28:29]
	;; [unrolled: 3-line block ×6, first 2 shown]
	v_fma_f64 v[24:25], v[0:1], v[24:25], v[48:49]
	v_fma_f64 v[2:3], v[0:1], v[26:27], -v[2:3]
	v_fma_f64 v[26:27], v[4:5], v[28:29], v[50:51]
	v_fma_f64 v[6:7], v[4:5], v[30:31], -v[6:7]
	;; [unrolled: 2-line block ×6, first 2 shown]
	v_mad_co_u64_u32 v[0:1], null, s4, v195, 0
	s_delay_alu instid0(VALU_DEP_1)
	v_mad_co_u64_u32 v[8:9], null, s5, v195, v[1:2]
	v_mov_b32_e32 v4, v61
	s_wait_alu 0xfffe
	v_mul_f64_e32 v[2:3], s[2:3], v[2:3]
	v_mul_f64_e32 v[6:7], s[2:3], v[6:7]
	;; [unrolled: 1-line block ×5, first 2 shown]
	v_mov_b32_e32 v1, v8
	v_mad_co_u64_u32 v[4:5], null, s7, v124, v[4:5]
	v_mul_f64_e32 v[8:9], s[2:3], v[28:29]
	v_mul_f64_e32 v[16:17], s[2:3], v[32:33]
	s_delay_alu instid0(VALU_DEP_4)
	v_lshlrev_b64_e32 v[38:39], 4, v[0:1]
	v_mul_f64_e32 v[0:1], s[2:3], v[24:25]
	v_mul_f64_e32 v[18:19], s[2:3], v[18:19]
	;; [unrolled: 1-line block ×3, first 2 shown]
	v_mov_b32_e32 v61, v4
	v_mul_f64_e32 v[4:5], s[2:3], v[26:27]
	v_mul_f64_e32 v[22:23], s[2:3], v[22:23]
	s_delay_alu instid0(VALU_DEP_3) | instskip(NEXT) | instid1(VALU_DEP_1)
	v_lshlrev_b64_e32 v[36:37], 4, v[60:61]
	v_add_co_u32 v24, vcc_lo, s0, v36
	s_wait_alu 0xfffd
	s_delay_alu instid0(VALU_DEP_2) | instskip(SKIP_1) | instid1(VALU_DEP_2)
	v_add_co_ci_u32_e32 v25, vcc_lo, s1, v37, vcc_lo
	s_mul_u64 s[0:1], s[4:5], 0xd0
	v_add_co_u32 v24, vcc_lo, v24, v38
	s_wait_alu 0xfffd
	s_delay_alu instid0(VALU_DEP_2) | instskip(SKIP_1) | instid1(VALU_DEP_2)
	v_add_co_ci_u32_e32 v25, vcc_lo, v25, v39, vcc_lo
	s_wait_alu 0xfffe
	v_add_co_u32 v26, vcc_lo, v24, s0
	s_wait_alu 0xfffd
	s_delay_alu instid0(VALU_DEP_2) | instskip(NEXT) | instid1(VALU_DEP_2)
	v_add_co_ci_u32_e32 v27, vcc_lo, s1, v25, vcc_lo
	v_add_co_u32 v28, vcc_lo, v26, s0
	s_wait_alu 0xfffd
	s_delay_alu instid0(VALU_DEP_2) | instskip(NEXT) | instid1(VALU_DEP_2)
	v_add_co_ci_u32_e32 v29, vcc_lo, s1, v27, vcc_lo
	;; [unrolled: 4-line block ×4, first 2 shown]
	v_add_co_u32 v34, vcc_lo, v32, s0
	s_wait_alu 0xfffd
	s_delay_alu instid0(VALU_DEP_2)
	v_add_co_ci_u32_e32 v35, vcc_lo, s1, v33, vcc_lo
	s_clause 0x4
	global_store_b128 v[24:25], v[0:3], off
	global_store_b128 v[26:27], v[4:7], off
	;; [unrolled: 1-line block ×6, first 2 shown]
.LBB0_10:
	s_nop 0
	s_sendmsg sendmsg(MSG_DEALLOC_VGPRS)
	s_endpgm
	.section	.rodata,"a",@progbits
	.p2align	6, 0x0
	.amdhsa_kernel bluestein_single_fwd_len78_dim1_dp_op_CI_CI
		.amdhsa_group_segment_fixed_size 23712
		.amdhsa_private_segment_fixed_size 284
		.amdhsa_kernarg_size 104
		.amdhsa_user_sgpr_count 2
		.amdhsa_user_sgpr_dispatch_ptr 0
		.amdhsa_user_sgpr_queue_ptr 0
		.amdhsa_user_sgpr_kernarg_segment_ptr 1
		.amdhsa_user_sgpr_dispatch_id 0
		.amdhsa_user_sgpr_private_segment_size 0
		.amdhsa_wavefront_size32 1
		.amdhsa_uses_dynamic_stack 0
		.amdhsa_enable_private_segment 1
		.amdhsa_system_sgpr_workgroup_id_x 1
		.amdhsa_system_sgpr_workgroup_id_y 0
		.amdhsa_system_sgpr_workgroup_id_z 0
		.amdhsa_system_sgpr_workgroup_info 0
		.amdhsa_system_vgpr_workitem_id 0
		.amdhsa_next_free_vgpr 256
		.amdhsa_next_free_sgpr 40
		.amdhsa_reserve_vcc 1
		.amdhsa_float_round_mode_32 0
		.amdhsa_float_round_mode_16_64 0
		.amdhsa_float_denorm_mode_32 3
		.amdhsa_float_denorm_mode_16_64 3
		.amdhsa_fp16_overflow 0
		.amdhsa_workgroup_processor_mode 1
		.amdhsa_memory_ordered 1
		.amdhsa_forward_progress 0
		.amdhsa_round_robin_scheduling 0
		.amdhsa_exception_fp_ieee_invalid_op 0
		.amdhsa_exception_fp_denorm_src 0
		.amdhsa_exception_fp_ieee_div_zero 0
		.amdhsa_exception_fp_ieee_overflow 0
		.amdhsa_exception_fp_ieee_underflow 0
		.amdhsa_exception_fp_ieee_inexact 0
		.amdhsa_exception_int_div_zero 0
	.end_amdhsa_kernel
	.text
.Lfunc_end0:
	.size	bluestein_single_fwd_len78_dim1_dp_op_CI_CI, .Lfunc_end0-bluestein_single_fwd_len78_dim1_dp_op_CI_CI
                                        ; -- End function
	.section	.AMDGPU.csdata,"",@progbits
; Kernel info:
; codeLenInByte = 11116
; NumSgprs: 42
; NumVgprs: 256
; ScratchSize: 284
; MemoryBound: 0
; FloatMode: 240
; IeeeMode: 1
; LDSByteSize: 23712 bytes/workgroup (compile time only)
; SGPRBlocks: 5
; VGPRBlocks: 31
; NumSGPRsForWavesPerEU: 42
; NumVGPRsForWavesPerEU: 256
; Occupancy: 5
; WaveLimiterHint : 1
; COMPUTE_PGM_RSRC2:SCRATCH_EN: 1
; COMPUTE_PGM_RSRC2:USER_SGPR: 2
; COMPUTE_PGM_RSRC2:TRAP_HANDLER: 0
; COMPUTE_PGM_RSRC2:TGID_X_EN: 1
; COMPUTE_PGM_RSRC2:TGID_Y_EN: 0
; COMPUTE_PGM_RSRC2:TGID_Z_EN: 0
; COMPUTE_PGM_RSRC2:TIDIG_COMP_CNT: 0
	.text
	.p2alignl 7, 3214868480
	.fill 96, 4, 3214868480
	.type	__hip_cuid_41de291cf4d54fff,@object ; @__hip_cuid_41de291cf4d54fff
	.section	.bss,"aw",@nobits
	.globl	__hip_cuid_41de291cf4d54fff
__hip_cuid_41de291cf4d54fff:
	.byte	0                               ; 0x0
	.size	__hip_cuid_41de291cf4d54fff, 1

	.ident	"AMD clang version 19.0.0git (https://github.com/RadeonOpenCompute/llvm-project roc-6.4.0 25133 c7fe45cf4b819c5991fe208aaa96edf142730f1d)"
	.section	".note.GNU-stack","",@progbits
	.addrsig
	.addrsig_sym __hip_cuid_41de291cf4d54fff
	.amdgpu_metadata
---
amdhsa.kernels:
  - .args:
      - .actual_access:  read_only
        .address_space:  global
        .offset:         0
        .size:           8
        .value_kind:     global_buffer
      - .actual_access:  read_only
        .address_space:  global
        .offset:         8
        .size:           8
        .value_kind:     global_buffer
      - .actual_access:  read_only
        .address_space:  global
        .offset:         16
        .size:           8
        .value_kind:     global_buffer
      - .actual_access:  read_only
        .address_space:  global
        .offset:         24
        .size:           8
        .value_kind:     global_buffer
      - .actual_access:  read_only
        .address_space:  global
        .offset:         32
        .size:           8
        .value_kind:     global_buffer
      - .offset:         40
        .size:           8
        .value_kind:     by_value
      - .address_space:  global
        .offset:         48
        .size:           8
        .value_kind:     global_buffer
      - .address_space:  global
        .offset:         56
        .size:           8
        .value_kind:     global_buffer
      - .address_space:  global
        .offset:         64
        .size:           8
        .value_kind:     global_buffer
      - .address_space:  global
        .offset:         72
        .size:           8
        .value_kind:     global_buffer
      - .offset:         80
        .size:           4
        .value_kind:     by_value
      - .address_space:  global
        .offset:         88
        .size:           8
        .value_kind:     global_buffer
      - .address_space:  global
        .offset:         96
        .size:           8
        .value_kind:     global_buffer
    .group_segment_fixed_size: 23712
    .kernarg_segment_align: 8
    .kernarg_segment_size: 104
    .language:       OpenCL C
    .language_version:
      - 2
      - 0
    .max_flat_workgroup_size: 247
    .name:           bluestein_single_fwd_len78_dim1_dp_op_CI_CI
    .private_segment_fixed_size: 284
    .sgpr_count:     42
    .sgpr_spill_count: 0
    .symbol:         bluestein_single_fwd_len78_dim1_dp_op_CI_CI.kd
    .uniform_work_group_size: 1
    .uses_dynamic_stack: false
    .vgpr_count:     256
    .vgpr_spill_count: 70
    .wavefront_size: 32
    .workgroup_processor_mode: 1
amdhsa.target:   amdgcn-amd-amdhsa--gfx1201
amdhsa.version:
  - 1
  - 2
...

	.end_amdgpu_metadata
